;; amdgpu-corpus repo=ROCm/rocFFT kind=compiled arch=gfx1201 opt=O3
	.text
	.amdgcn_target "amdgcn-amd-amdhsa--gfx1201"
	.amdhsa_code_object_version 6
	.protected	bluestein_single_back_len1008_dim1_sp_op_CI_CI ; -- Begin function bluestein_single_back_len1008_dim1_sp_op_CI_CI
	.globl	bluestein_single_back_len1008_dim1_sp_op_CI_CI
	.p2align	8
	.type	bluestein_single_back_len1008_dim1_sp_op_CI_CI,@function
bluestein_single_back_len1008_dim1_sp_op_CI_CI: ; @bluestein_single_back_len1008_dim1_sp_op_CI_CI
; %bb.0:
	s_load_b128 s[16:19], s[0:1], 0x28
	v_mul_u32_u24_e32 v1, 0x493, v0
	s_mov_b32 s2, exec_lo
	v_mov_b32_e32 v109, 0
	s_delay_alu instid0(VALU_DEP_2) | instskip(NEXT) | instid1(VALU_DEP_1)
	v_lshrrev_b32_e32 v1, 16, v1
	v_add_nc_u32_e32 v108, ttmp9, v1
	s_wait_kmcnt 0x0
	s_delay_alu instid0(VALU_DEP_1)
	v_cmpx_gt_u64_e64 s[16:17], v[108:109]
	s_cbranch_execz .LBB0_10
; %bb.1:
	s_clause 0x1
	s_load_b128 s[4:7], s[0:1], 0x18
	s_load_b128 s[8:11], s[0:1], 0x0
	v_mul_lo_u16 v1, v1, 56
	s_movk_i32 s2, 0xf200
	s_mov_b32 s3, -1
                                        ; implicit-def: $vgpr159
	s_delay_alu instid0(VALU_DEP_1) | instskip(NEXT) | instid1(VALU_DEP_1)
	v_sub_nc_u16 v10, v0, v1
	v_and_b32_e32 v164, 0xffff, v10
	s_wait_kmcnt 0x0
	s_load_b128 s[12:15], s[4:5], 0x0
	s_wait_kmcnt 0x0
	v_mad_co_u64_u32 v[0:1], null, s14, v108, 0
	v_mad_co_u64_u32 v[2:3], null, s12, v164, 0
	s_mul_u64 s[4:5], s[12:13], 0xfc0
	s_mul_u64 s[2:3], s[12:13], s[2:3]
	s_delay_alu instid0(VALU_DEP_1) | instskip(NEXT) | instid1(VALU_DEP_1)
	v_mad_co_u64_u32 v[6:7], null, s15, v108, v[1:2]
	v_mov_b32_e32 v1, v6
	v_or_b32_e32 v162, 0x1c0, v164
	v_or_b32_e32 v161, 0x380, v164
	v_lshlrev_b32_e32 v165, 4, v164
	s_delay_alu instid0(VALU_DEP_4) | instskip(NEXT) | instid1(VALU_DEP_4)
	v_lshlrev_b64_e32 v[0:1], 3, v[0:1]
	v_mad_co_u64_u32 v[7:8], null, s12, v162, 0
	s_delay_alu instid0(VALU_DEP_4) | instskip(SKIP_2) | instid1(VALU_DEP_4)
	v_mad_co_u64_u32 v[4:5], null, s12, v161, 0
	v_lshlrev_b32_e32 v163, 3, v164
	v_lshlrev_b32_e32 v180, 4, v162
	v_mov_b32_e32 v6, v8
	global_load_b64 v[125:126], v163, s[8:9] offset:4928
	v_mad_co_u64_u32 v[11:12], null, s13, v164, v[3:4]
	s_clause 0x4
	global_load_b64 v[133:134], v163, s[8:9]
	global_load_b64 v[131:132], v163, s[8:9] offset:448
	global_load_b64 v[129:130], v163, s[8:9] offset:896
	;; [unrolled: 1-line block ×4, first 2 shown]
	v_mad_co_u64_u32 v[8:9], null, s13, v161, v[5:6]
	v_add_co_u32 v9, vcc_lo, s18, v0
	v_add_co_ci_u32_e32 v19, vcc_lo, s19, v1, vcc_lo
	v_mad_co_u64_u32 v[0:1], null, s13, v162, v[6:7]
	v_mov_b32_e32 v3, v11
	v_mov_b32_e32 v5, v8
	s_clause 0x2
	global_load_b64 v[135:136], v163, s[8:9] offset:4480
	global_load_b64 v[139:140], v163, s[8:9] offset:4032
	;; [unrolled: 1-line block ×3, first 2 shown]
	v_mov_b32_e32 v8, v0
	v_lshlrev_b64_e32 v[2:3], 3, v[2:3]
	s_delay_alu instid0(VALU_DEP_2) | instskip(NEXT) | instid1(VALU_DEP_2)
	v_lshlrev_b64_e32 v[7:8], 3, v[7:8]
	v_add_co_u32 v1, vcc_lo, v9, v2
	s_wait_alu 0xfffd
	s_delay_alu instid0(VALU_DEP_3) | instskip(SKIP_1) | instid1(VALU_DEP_3)
	v_add_co_ci_u32_e32 v2, vcc_lo, v19, v3, vcc_lo
	v_lshlrev_b64_e32 v[3:4], 3, v[4:5]
	v_add_co_u32 v11, vcc_lo, v1, s4
	s_wait_alu 0xfffd
	s_delay_alu instid0(VALU_DEP_3) | instskip(SKIP_4) | instid1(VALU_DEP_2)
	v_add_co_ci_u32_e32 v12, vcc_lo, s5, v2, vcc_lo
	global_load_b64 v[1:2], v[1:2], off
	v_add_co_u32 v13, vcc_lo, v11, s2
	s_wait_alu 0xfffd
	v_add_co_ci_u32_e32 v14, vcc_lo, s3, v12, vcc_lo
	v_add_co_u32 v5, vcc_lo, v13, s4
	s_wait_alu 0xfffd
	s_delay_alu instid0(VALU_DEP_2) | instskip(NEXT) | instid1(VALU_DEP_2)
	v_add_co_ci_u32_e32 v6, vcc_lo, s5, v14, vcc_lo
	v_add_co_u32 v15, vcc_lo, v5, s2
	s_wait_alu 0xfffd
	s_delay_alu instid0(VALU_DEP_2)
	v_add_co_ci_u32_e32 v16, vcc_lo, s3, v6, vcc_lo
	v_add_co_u32 v3, vcc_lo, v9, v3
	s_wait_alu 0xfffd
	v_add_co_ci_u32_e32 v4, vcc_lo, v19, v4, vcc_lo
	v_add_co_u32 v17, vcc_lo, v15, s4
	s_wait_alu 0xfffd
	;; [unrolled: 3-line block ×4, first 2 shown]
	v_add_co_ci_u32_e32 v20, vcc_lo, s3, v18, vcc_lo
	s_clause 0x1
	global_load_b64 v[3:4], v[3:4], off
	global_load_b64 v[7:8], v[7:8], off
	v_add_co_u32 v21, vcc_lo, v19, s4
	s_wait_alu 0xfffd
	v_add_co_ci_u32_e32 v22, vcc_lo, s5, v20, vcc_lo
	s_clause 0x1
	global_load_b64 v[25:26], v[11:12], off
	global_load_b64 v[27:28], v[13:14], off
	v_add_co_u32 v23, vcc_lo, v21, s2
	s_wait_alu 0xfffd
	;; [unrolled: 6-line block ×3, first 2 shown]
	v_add_co_ci_u32_e32 v12, vcc_lo, s5, v24, vcc_lo
	global_load_b64 v[31:32], v[17:18], off
	v_add_co_u32 v13, vcc_lo, v11, s2
	s_wait_alu 0xfffd
	v_add_co_ci_u32_e32 v14, vcc_lo, s3, v12, vcc_lo
	global_load_b64 v[33:34], v[19:20], off
	v_add_co_u32 v15, vcc_lo, v13, s4
	s_wait_alu 0xfffd
	;; [unrolled: 4-line block ×3, first 2 shown]
	v_add_co_ci_u32_e32 v18, vcc_lo, s3, v16, vcc_lo
	s_clause 0x1
	global_load_b64 v[143:144], v163, s[8:9] offset:5376
	global_load_b64 v[141:142], v163, s[8:9] offset:1792
	global_load_b64 v[23:24], v[23:24], off
	v_add_co_u32 v19, vcc_lo, v17, s4
	s_wait_alu 0xfffd
	v_add_co_ci_u32_e32 v20, vcc_lo, s5, v18, vcc_lo
	global_load_b64 v[137:138], v163, s[8:9] offset:5824
	global_load_b64 v[39:40], v[11:12], off
	global_load_b64 v[121:122], v163, s[8:9] offset:2240
	global_load_b64 v[41:42], v[13:14], off
	v_add_co_u32 v35, vcc_lo, v19, s2
	s_wait_alu 0xfffd
	v_add_co_ci_u32_e32 v36, vcc_lo, s3, v20, vcc_lo
	global_load_b64 v[123:124], v163, s[8:9] offset:6272
	global_load_b64 v[43:44], v[15:16], off
	global_load_b64 v[119:120], v163, s[8:9] offset:2688
	global_load_b64 v[45:46], v[17:18], off
	;; [unrolled: 2-line block ×3, first 2 shown]
	v_and_b32_e32 v9, 1, v164
	v_mad_co_u64_u32 v[37:38], null, 0x1180, s12, v[35:36]
	v_add_nc_u32_e32 v13, 0x1000, v163
	v_add_nc_u32_e32 v15, 0x400, v163
	v_add_nc_u32_e32 v14, 0x800, v163
	v_add_co_u32 v19, null, 0xa8, v164
	v_add_co_u32 v18, null, v164, 56
	v_mov_b32_e32 v0, v38
	s_delay_alu instid0(VALU_DEP_3)
	v_lshlrev_b32_e32 v198, 4, v19
	v_add_co_u32 v17, null, 0xe0, v164
	v_add_co_u32 v16, null, 0x118, v164
	v_cmp_gt_u16_e32 vcc_lo, 48, v10
	s_wait_loadcnt 0x16
	v_mad_co_u64_u32 v[11:12], null, 0x1180, s13, v[0:1]
	v_dual_mul_f32 v49, v2, v134 :: v_dual_lshlrev_b32 v0, 1, v164
	v_mul_f32_e32 v20, v1, v134
	v_add_nc_u32_e32 v12, 0x1800, v163
	s_delay_alu instid0(VALU_DEP_3)
	v_lshlrev_b32_e32 v62, 3, v0
	v_mov_b32_e32 v38, v11
	global_load_b64 v[115:116], v163, s[8:9] offset:3136
	global_load_b64 v[35:36], v[35:36], off
	global_load_b64 v[113:114], v163, s[8:9] offset:7616
	global_load_b64 v[37:38], v[37:38], off
	v_fmac_f32_e32 v49, v1, v133
	v_fma_f32 v50, v2, v133, -v20
	s_load_b128 s[4:7], s[6:7], 0x0
	v_add_co_u32 v11, null, 0x70, v164
	v_add_nc_u32_e32 v214, 0x310, v0
	s_wait_loadcnt 0x19
	s_delay_alu instid0(VALU_DEP_2)
	v_dual_mul_f32 v51, v4, v110 :: v_dual_lshlrev_b32 v200, 4, v11
	s_wait_loadcnt 0x18
	v_dual_mul_f32 v52, v3, v110 :: v_dual_mul_f32 v53, v8, v112
	v_mul_f32_e32 v54, v7, v112
	s_wait_loadcnt 0x17
	v_mul_f32_e32 v1, v26, v140
	v_dual_mul_f32 v2, v25, v140 :: v_dual_fmac_f32 v51, v3, v109
	v_fma_f32 v52, v4, v109, -v52
	s_wait_loadcnt 0x16
	v_mul_f32_e32 v3, v28, v132
	v_mul_f32_e32 v4, v27, v132
	v_fmac_f32_e32 v53, v7, v111
	v_fmac_f32_e32 v1, v25, v139
	v_fma_f32 v2, v26, v139, -v2
	v_fma_f32 v54, v8, v111, -v54
	s_wait_loadcnt 0x15
	v_dual_mul_f32 v8, v5, v136 :: v_dual_fmac_f32 v3, v27, v131
	v_fma_f32 v4, v28, v131, -v4
	s_delay_alu instid0(VALU_DEP_2)
	v_fma_f32 v8, v6, v135, -v8
	s_wait_loadcnt 0x10
	v_mul_f32_e32 v20, v22, v144
	v_mul_f32_e32 v7, v6, v136
	;; [unrolled: 1-line block ×3, first 2 shown]
	ds_store_b64 v163, v[1:2] offset:4032
	ds_store_2addr_b64 v163, v[49:50], v[3:4] offset1:56
	v_mul_f32_e32 v1, v30, v130
	v_mul_f32_e32 v2, v29, v130
	;; [unrolled: 1-line block ×3, first 2 shown]
	v_dual_mul_f32 v4, v31, v126 :: v_dual_mul_f32 v25, v21, v144
	v_fmac_f32_e32 v20, v21, v143
	v_fmac_f32_e32 v7, v5, v135
	v_mul_f32_e32 v5, v34, v128
	v_fmac_f32_e32 v1, v29, v129
	v_fma_f32 v2, v30, v129, -v2
	v_fma_f32 v4, v32, v125, -v4
	;; [unrolled: 1-line block ×3, first 2 shown]
	v_fmac_f32_e32 v5, v33, v127
	ds_store_b64 v163, v[53:54] offset:3584
	ds_store_2addr_b64 v163, v[1:2], v[5:6] offset0:112 offset1:168
	s_wait_loadcnt 0xe
	v_mul_f32_e32 v2, v23, v142
	s_wait_loadcnt 0xc
	v_mul_f32_e32 v6, v39, v138
	;; [unrolled: 2-line block ×3, first 2 shown]
	v_mul_f32_e32 v1, v40, v138
	s_wait_loadcnt 0x0
	v_mul_f32_e32 v28, v38, v114
	v_fma_f32 v21, v22, v143, -v25
	v_mul_f32_e32 v22, v46, v120
	v_fmac_f32_e32 v26, v35, v115
	v_fmac_f32_e32 v3, v31, v125
	v_dual_mul_f32 v5, v42, v122 :: v_dual_fmac_f32 v28, v37, v113
	s_delay_alu instid0(VALU_DEP_4)
	v_dual_fmac_f32 v22, v45, v119 :: v_dual_mul_f32 v25, v47, v118
	ds_store_2addr_b64 v13, v[7:8], v[3:4] offset0:48 offset1:104
	v_mul_f32_e32 v3, v24, v142
	v_mul_f32_e32 v8, v41, v122
	v_fma_f32 v4, v24, v141, -v2
	v_fma_f32 v2, v40, v137, -v6
	v_mul_f32_e32 v7, v44, v124
	v_fmac_f32_e32 v3, v23, v141
	v_fma_f32 v6, v42, v121, -v8
	v_mul_f32_e32 v8, v43, v124
	v_dual_mul_f32 v24, v48, v118 :: v_dual_mul_f32 v23, v45, v120
	v_mul_f32_e32 v27, v35, v116
	v_mul_f32_e32 v29, v37, v114
	v_fmac_f32_e32 v1, v39, v137
	v_fmac_f32_e32 v5, v41, v121
	v_fmac_f32_e32 v7, v43, v123
	v_fma_f32 v8, v44, v123, -v8
	v_fmac_f32_e32 v24, v47, v117
	v_fma_f32 v25, v48, v117, -v25
	v_fma_f32 v23, v46, v119, -v23
	;; [unrolled: 1-line block ×4, first 2 shown]
	ds_store_2addr_b64 v13, v[20:21], v[1:2] offset0:160 offset1:216
	ds_store_2addr_b64 v15, v[3:4], v[5:6] offset0:96 offset1:152
	;; [unrolled: 1-line block ×5, first 2 shown]
	global_wb scope:SCOPE_SE
	s_wait_dscnt 0x0
	s_wait_kmcnt 0x0
	s_barrier_signal -1
	s_barrier_wait -1
	global_inv scope:SCOPE_SE
	ds_load_2addr_b64 v[1:4], v163 offset1:56
	ds_load_2addr_b64 v[5:8], v14 offset0:192 offset1:248
	ds_load_2addr_b64 v[20:23], v13 offset0:48 offset1:104
	;; [unrolled: 1-line block ×8, first 2 shown]
	v_lshlrev_b32_e32 v201, 4, v18
	v_lshlrev_b32_e32 v195, 4, v17
	;; [unrolled: 1-line block ×4, first 2 shown]
	global_wb scope:SCOPE_SE
	s_wait_dscnt 0x0
	s_barrier_signal -1
	s_barrier_wait -1
	global_inv scope:SCOPE_SE
	v_dual_sub_f32 v48, v1, v7 :: v_dual_sub_f32 v49, v2, v8
	v_dual_sub_f32 v52, v3, v20 :: v_dual_sub_f32 v53, v4, v21
	;; [unrolled: 1-line block ×9, first 2 shown]
	v_fma_f32 v46, v1, 2.0, -v48
	v_fma_f32 v47, v2, 2.0, -v49
	;; [unrolled: 1-line block ×9, first 2 shown]
	v_lshlrev_b32_e32 v4, 1, v17
	v_fma_f32 v55, v33, 2.0, -v57
	v_fma_f32 v34, v34, 2.0, -v36
	;; [unrolled: 1-line block ×9, first 2 shown]
	v_lshlrev_b32_e32 v2, 1, v11
	ds_store_b128 v165, v[46:49]
	ds_store_b128 v201, v[50:53]
	;; [unrolled: 1-line block ×6, first 2 shown]
	ds_store_b128 v62, v[58:61] offset:5376
	ds_store_b128 v62, v[42:45] offset:6272
	ds_store_b128 v180, v[5:8]
	global_wb scope:SCOPE_SE
	s_wait_dscnt 0x0
	s_barrier_signal -1
	s_barrier_wait -1
	global_inv scope:SCOPE_SE
	global_load_b64 v[145:146], v63, s[10:11]
	ds_load_2addr_b64 v[20:23], v14 offset0:192 offset1:248
	ds_load_2addr_b64 v[24:27], v13 offset0:48 offset1:104
	v_lshlrev_b32_e32 v3, 1, v19
	v_lshlrev_b32_e32 v5, 1, v16
	v_and_or_b32 v8, 0x1fc, v2, v9
	v_add_nc_u32_e32 v213, 0x2a0, v0
	v_and_or_b32 v29, 0x3fc, v4, v9
	v_and_or_b32 v33, 0x3fc, v214, v9
	;; [unrolled: 1-line block ×3, first 2 shown]
	v_lshlrev_b32_e32 v187, 3, v8
	v_lshlrev_b32_e32 v6, 1, v162
	;; [unrolled: 1-line block ×3, first 2 shown]
	v_and_b32_e32 v56, 3, v164
	s_wait_loadcnt_dscnt 0x1
	v_mul_f32_e32 v8, v22, v146
	v_and_or_b32 v28, 0x1fc, v3, v9
	s_wait_dscnt 0x0
	v_mul_f32_e32 v58, v24, v146
	v_and_or_b32 v30, 0x2fc, v5, v9
	v_mul_f32_e32 v60, v26, v146
	v_and_or_b32 v32, 0x3fc, v213, v9
	v_dual_fmac_f32 v8, v23, v145 :: v_dual_lshlrev_b32 v183, 3, v28
	s_delay_alu instid0(VALU_DEP_4)
	v_lshlrev_b32_e32 v176, 3, v30
	ds_load_2addr_b64 v[28:31], v13 offset0:160 offset1:216
	v_lshlrev_b32_e32 v173, 3, v32
	v_lshlrev_b32_e32 v169, 3, v33
	ds_load_2addr_b64 v[32:35], v12 offset0:16 offset1:72
	ds_load_2addr_b64 v[36:39], v163 offset1:56
	ds_load_2addr_b64 v[40:43], v163 offset0:112 offset1:168
	ds_load_2addr_b64 v[44:47], v15 offset0:96 offset1:152
	;; [unrolled: 1-line block ×4, first 2 shown]
	v_dual_fmac_f32 v58, v25, v145 :: v_dual_lshlrev_b32 v1, 1, v18
	v_lshlrev_b32_e32 v191, 3, v7
	v_dual_fmac_f32 v60, v27, v145 :: v_dual_lshlrev_b32 v57, 3, v56
	s_delay_alu instid0(VALU_DEP_3)
	v_and_or_b32 v7, 0xfc, v1, v9
	v_and_or_b32 v9, 0x3fc, v6, v9
	global_wb scope:SCOPE_SE
	s_wait_dscnt 0x0
	s_barrier_signal -1
	s_barrier_wait -1
	v_lshlrev_b32_e32 v192, 3, v7
	v_lshlrev_b32_e32 v167, 3, v9
	v_mul_f32_e32 v9, v25, v146
	global_inv scope:SCOPE_SE
	v_mul_f32_e32 v66, v32, v146
	v_mul_f32_e32 v59, v27, v146
	;; [unrolled: 1-line block ×12, first 2 shown]
	v_fma_f32 v9, v24, v145, -v9
	v_dual_mul_f32 v67, v35, v146 :: v_dual_fmac_f32 v62, v29, v145
	v_fma_f32 v7, v22, v145, -v7
	v_fmac_f32_e32 v64, v31, v145
	s_delay_alu instid0(VALU_DEP_4)
	v_sub_f32_e32 v22, v38, v9
	v_fmac_f32_e32 v66, v33, v145
	v_fma_f32 v24, v26, v145, -v59
	v_fma_f32 v26, v28, v145, -v61
	v_fmac_f32_e32 v70, v49, v145
	v_fma_f32 v28, v30, v145, -v63
	v_mul_f32_e32 v71, v51, v146
	v_fmac_f32_e32 v68, v35, v145
	v_fma_f32 v30, v32, v145, -v65
	v_fma_f32 v32, v34, v145, -v67
	v_sub_f32_e32 v28, v44, v28
	v_fmac_f32_e32 v72, v51, v145
	v_fma_f32 v34, v48, v145, -v69
	v_fma_f32 v48, v50, v145, -v71
	v_dual_sub_f32 v7, v36, v7 :: v_dual_sub_f32 v26, v42, v26
	v_dual_sub_f32 v8, v37, v8 :: v_dual_sub_f32 v23, v39, v58
	v_sub_f32_e32 v32, v52, v32
	v_sub_f32_e32 v24, v40, v24
	v_dual_sub_f32 v25, v41, v60 :: v_dual_sub_f32 v30, v46, v30
	v_dual_sub_f32 v27, v43, v62 :: v_dual_sub_f32 v48, v20, v48
	;; [unrolled: 1-line block ×3, first 2 shown]
	v_sub_f32_e32 v31, v47, v66
	v_sub_f32_e32 v33, v53, v68
	v_sub_f32_e32 v35, v55, v70
	v_sub_f32_e32 v49, v21, v72
	v_fma_f32 v36, v36, 2.0, -v7
	v_fma_f32 v37, v37, 2.0, -v8
	;; [unrolled: 1-line block ×18, first 2 shown]
	ds_store_2addr_b64 v191, v[36:37], v[7:8] offset1:2
	ds_store_2addr_b64 v192, v[38:39], v[22:23] offset1:2
	;; [unrolled: 1-line block ×9, first 2 shown]
	global_wb scope:SCOPE_SE
	s_wait_dscnt 0x0
	s_barrier_signal -1
	s_barrier_wait -1
	global_inv scope:SCOPE_SE
	global_load_b64 v[149:150], v57, s[10:11] offset:16
	ds_load_2addr_b64 v[20:23], v14 offset0:192 offset1:248
	v_and_or_b32 v7, 0x78, v0, v56
	v_and_or_b32 v28, 0x1f8, v3, v56
	;; [unrolled: 1-line block ×5, first 2 shown]
	v_lshlrev_b32_e32 v188, 3, v7
	v_and_or_b32 v7, 0xf8, v1, v56
	v_and_or_b32 v32, 0x3f8, v213, v56
	;; [unrolled: 1-line block ×4, first 2 shown]
	ds_load_2addr_b64 v[24:27], v13 offset0:48 offset1:104
	v_lshlrev_b32_e32 v189, 3, v7
	v_lshlrev_b32_e32 v182, 3, v28
	v_and_b32_e32 v9, 7, v164
	v_lshlrev_b32_e32 v186, 3, v8
	v_lshlrev_b32_e32 v178, 3, v29
	;; [unrolled: 1-line block ×3, first 2 shown]
	s_wait_loadcnt_dscnt 0x0
	v_dual_mul_f32 v59, v27, v150 :: v_dual_lshlrev_b32 v168, 3, v33
	v_mul_f32_e32 v7, v23, v150
	v_mul_f32_e32 v8, v22, v150
	v_lshlrev_b32_e32 v175, 3, v30
	ds_load_2addr_b64 v[28:31], v13 offset0:160 offset1:216
	v_and_or_b32 v0, 0x70, v0, v9
	v_fma_f32 v7, v22, v149, -v7
	v_fmac_f32_e32 v8, v23, v149
	v_lshlrev_b32_e32 v166, 3, v34
	ds_load_2addr_b64 v[32:35], v12 offset0:16 offset1:72
	ds_load_2addr_b64 v[36:39], v163 offset1:56
	ds_load_2addr_b64 v[40:43], v163 offset0:112 offset1:168
	ds_load_2addr_b64 v[44:47], v15 offset0:96 offset1:152
	;; [unrolled: 1-line block ×4, first 2 shown]
	v_lshlrev_b32_e32 v196, 3, v0
	v_and_or_b32 v0, 0xf0, v1, v9
	v_dual_mul_f32 v58, v24, v150 :: v_dual_lshlrev_b32 v57, 3, v9
	v_mul_f32_e32 v56, v25, v150
	global_wb scope:SCOPE_SE
	s_wait_dscnt 0x0
	v_dual_fmac_f32 v58, v25, v149 :: v_dual_lshlrev_b32 v197, 3, v0
	s_barrier_signal -1
	v_fma_f32 v22, v24, v149, -v56
	v_fma_f32 v24, v26, v149, -v59
	s_barrier_wait -1
	global_inv scope:SCOPE_SE
	v_mul_f32_e32 v68, v34, v150
	v_mul_f32_e32 v62, v28, v150
	;; [unrolled: 1-line block ×5, first 2 shown]
	v_dual_mul_f32 v69, v49, v150 :: v_dual_fmac_f32 v68, v35, v149
	v_mul_f32_e32 v64, v30, v150
	v_mul_f32_e32 v70, v48, v150
	s_delay_alu instid0(VALU_DEP_4)
	v_fmac_f32_e32 v72, v51, v149
	v_mul_f32_e32 v66, v32, v150
	v_mul_f32_e32 v65, v33, v150
	v_fmac_f32_e32 v62, v29, v149
	v_dual_fmac_f32 v70, v49, v149 :: v_dual_sub_f32 v23, v39, v58
	v_sub_f32_e32 v49, v21, v72
	v_dual_mul_f32 v71, v51, v150 :: v_dual_fmac_f32 v66, v33, v149
	v_dual_sub_f32 v33, v53, v68 :: v_dual_fmac_f32 v64, v31, v149
	v_mul_f32_e32 v60, v26, v150
	v_mul_f32_e32 v61, v29, v150
	v_dual_sub_f32 v7, v36, v7 :: v_dual_sub_f32 v8, v37, v8
	s_delay_alu instid0(VALU_DEP_3) | instskip(SKIP_1) | instid1(VALU_DEP_4)
	v_dual_sub_f32 v29, v45, v64 :: v_dual_fmac_f32 v60, v27, v149
	v_sub_f32_e32 v27, v43, v62
	v_fma_f32 v26, v28, v149, -v61
	v_fma_f32 v28, v30, v149, -v63
	;; [unrolled: 1-line block ×6, first 2 shown]
	v_sub_f32_e32 v22, v38, v22
	v_dual_sub_f32 v24, v40, v24 :: v_dual_sub_f32 v31, v47, v66
	v_dual_sub_f32 v25, v41, v60 :: v_dual_sub_f32 v26, v42, v26
	;; [unrolled: 1-line block ×3, first 2 shown]
	v_sub_f32_e32 v30, v46, v30
	v_sub_f32_e32 v32, v52, v32
	;; [unrolled: 1-line block ×4, first 2 shown]
	v_fma_f32 v36, v36, 2.0, -v7
	v_fma_f32 v37, v37, 2.0, -v8
	;; [unrolled: 1-line block ×18, first 2 shown]
	ds_store_2addr_b64 v188, v[36:37], v[7:8] offset1:4
	ds_store_2addr_b64 v189, v[38:39], v[22:23] offset1:4
	;; [unrolled: 1-line block ×9, first 2 shown]
	global_wb scope:SCOPE_SE
	s_wait_dscnt 0x0
	s_barrier_signal -1
	s_barrier_wait -1
	global_inv scope:SCOPE_SE
	global_load_b64 v[147:148], v57, s[10:11] offset:48
	v_and_or_b32 v7, 0x1f0, v2, v9
	v_and_or_b32 v22, 0x3f0, v4, v9
	;; [unrolled: 1-line block ×7, first 2 shown]
	ds_load_2addr_b64 v[0:3], v14 offset0:192 offset1:248
	v_lshlrev_b32_e32 v194, 3, v7
	ds_load_2addr_b64 v[4:7], v13 offset0:48 offset1:104
	v_lshlrev_b32_e32 v185, 3, v22
	v_lshlrev_b32_e32 v181, 3, v23
	ds_load_2addr_b64 v[22:25], v13 offset0:160 offset1:216
	v_lshlrev_b32_e32 v177, 3, v26
	v_lshlrev_b32_e32 v174, 3, v27
	ds_load_2addr_b64 v[26:29], v12 offset0:16 offset1:72
	ds_load_2addr_b64 v[30:33], v163 offset1:56
	ds_load_2addr_b64 v[34:37], v163 offset0:112 offset1:168
	ds_load_2addr_b64 v[38:41], v15 offset0:96 offset1:152
	;; [unrolled: 1-line block ×4, first 2 shown]
	v_lshlrev_b32_e32 v170, 3, v9
	v_and_b32_e32 v21, 15, v16
	global_wb scope:SCOPE_SE
	s_wait_loadcnt_dscnt 0x0
	s_barrier_signal -1
	s_barrier_wait -1
	global_inv scope:SCOPE_SE
	v_lshlrev_b32_e32 v51, 4, v21
	v_mul_f32_e32 v57, v22, v148
	v_mul_f32_e32 v9, v2, v148
	;; [unrolled: 1-line block ×3, first 2 shown]
	v_and_b32_e32 v20, 15, v164
	v_mul_f32_e32 v55, v6, v148
	v_mul_f32_e32 v59, v24, v148
	v_lshlrev_b32_e32 v190, 3, v8
	v_mul_f32_e32 v63, v28, v148
	v_mul_f32_e32 v8, v3, v148
	;; [unrolled: 1-line block ×4, first 2 shown]
	v_dual_mul_f32 v58, v25, v148 :: v_dual_fmac_f32 v9, v3, v147
	v_mul_f32_e32 v62, v29, v148
	v_dual_fmac_f32 v53, v5, v147 :: v_dual_lshlrev_b32 v50, 4, v20
	v_fmac_f32_e32 v55, v7, v147
	v_mul_f32_e32 v56, v23, v148
	v_dual_mul_f32 v66, v45, v148 :: v_dual_fmac_f32 v57, v23, v147
	v_dual_mul_f32 v60, v27, v148 :: v_dual_fmac_f32 v63, v29, v147
	v_fma_f32 v2, v2, v147, -v8
	v_mul_f32_e32 v61, v26, v148
	v_mul_f32_e32 v52, v5, v148
	;; [unrolled: 1-line block ×3, first 2 shown]
	s_delay_alu instid0(VALU_DEP_4) | instskip(SKIP_2) | instid1(VALU_DEP_4)
	v_dual_fmac_f32 v65, v43, v147 :: v_dual_sub_f32 v2, v30, v2
	v_mul_f32_e32 v54, v7, v148
	v_sub_f32_e32 v3, v31, v9
	v_fmac_f32_e32 v67, v45, v147
	v_sub_f32_e32 v5, v33, v53
	v_fma_f32 v8, v22, v147, -v56
	v_fma_f32 v22, v24, v147, -v58
	v_sub_f32_e32 v7, v35, v55
	v_sub_f32_e32 v9, v37, v57
	v_fma_f32 v24, v26, v147, -v60
	v_fma_f32 v26, v28, v147, -v62
	;; [unrolled: 1-line block ×5, first 2 shown]
	v_dual_fmac_f32 v59, v25, v147 :: v_dual_sub_f32 v8, v36, v8
	s_delay_alu instid0(VALU_DEP_3) | instskip(SKIP_4) | instid1(VALU_DEP_3)
	v_dual_sub_f32 v29, v49, v65 :: v_dual_sub_f32 v42, v0, v42
	v_fmac_f32_e32 v61, v27, v147
	v_fma_f32 v4, v4, v147, -v52
	v_dual_sub_f32 v6, v34, v6 :: v_dual_sub_f32 v27, v47, v63
	v_dual_sub_f32 v22, v38, v22 :: v_dual_sub_f32 v43, v1, v67
	;; [unrolled: 1-line block ×4, first 2 shown]
	v_sub_f32_e32 v26, v46, v26
	v_sub_f32_e32 v28, v48, v28
	v_fma_f32 v30, v30, 2.0, -v2
	v_fma_f32 v31, v31, 2.0, -v3
	;; [unrolled: 1-line block ×18, first 2 shown]
	ds_store_2addr_b64 v196, v[30:31], v[2:3] offset1:8
	ds_store_2addr_b64 v197, v[32:33], v[4:5] offset1:8
	ds_store_2addr_b64 v194, v[34:35], v[6:7] offset1:8
	ds_store_2addr_b64 v190, v[36:37], v[8:9] offset1:8
	ds_store_2addr_b64 v185, v[38:39], v[22:23] offset1:8
	ds_store_2addr_b64 v181, v[40:41], v[24:25] offset1:8
	ds_store_2addr_b64 v177, v[44:45], v[26:27] offset1:8
	ds_store_2addr_b64 v174, v[46:47], v[28:29] offset1:8
	ds_store_2addr_b64 v170, v[0:1], v[42:43] offset1:8
	v_and_b32_e32 v31, 0xff, v18
	v_and_b32_e32 v24, 15, v19
	global_wb scope:SCOPE_SE
	s_wait_dscnt 0x0
	s_barrier_signal -1
	s_barrier_wait -1
	global_inv scope:SCOPE_SE
	global_load_b128 v[0:3], v50, s[10:11] offset:112
	v_lshlrev_b32_e32 v4, 4, v24
	v_and_b32_e32 v25, 15, v18
	s_clause 0x1
	global_load_b64 v[151:152], v51, s[10:11] offset:112
	global_load_b64 v[153:154], v51, s[10:11] offset:120
	v_lshrrev_b32_e32 v26, 4, v18
	v_add_co_u32 v22, s2, 0xffffffd0, v164
	global_load_b128 v[4:7], v4, s[10:11] offset:112
	v_lshlrev_b32_e32 v8, 4, v25
	s_clause 0x1
	global_load_b32 v184, v51, s[10:11] offset:124
	global_load_b64 v[155:156], v51, s[10:11] offset:116
	s_wait_alu 0xf1ff
	v_add_co_ci_u32_e64 v9, null, 0, -1, s2
	v_mul_u32_u24_e32 v26, 48, v26
	global_load_b32 v171, v8, s[10:11] offset:112
	v_lshrrev_b32_e32 v8, 4, v164
	v_lshrrev_b32_e32 v27, 4, v11
	;; [unrolled: 1-line block ×4, first 2 shown]
	v_cndmask_b32_e64 v9, v9, 0, vcc_lo
	v_mul_u32_u24_e32 v23, 48, v8
	v_and_b32_e32 v32, 0xff, v11
	v_and_b32_e32 v33, 0xff, v19
	;; [unrolled: 1-line block ×3, first 2 shown]
	v_or_b32_e32 v25, v26, v25
	v_cndmask_b32_e32 v8, v22, v164, vcc_lo
	v_or_b32_e32 v36, v23, v20
	v_mul_u32_u24_e32 v27, 48, v27
	v_mul_u32_u24_e32 v29, 48, v29
	v_lshlrev_b32_e32 v205, 3, v25
	v_mul_u32_u24_e32 v30, 48, v30
	v_lshlrev_b64_e32 v[22:23], 4, v[8:9]
	v_mul_lo_u16 v9, 0xab, v31
	v_mul_lo_u16 v31, 0xab, v32
	;; [unrolled: 1-line block ×3, first 2 shown]
	v_mul_u32_u24_e32 v33, 0xaaab, v34
	v_or_b32_e32 v26, v27, v20
	v_or_b32_e32 v20, v29, v20
	;; [unrolled: 1-line block ×3, first 2 shown]
	v_lshrrev_b16 v59, 13, v9
	v_lshrrev_b16 v46, 13, v31
	;; [unrolled: 1-line block ×3, first 2 shown]
	v_lshrrev_b32_e32 v44, 21, v33
	v_add_co_u32 v41, vcc_lo, s10, v22
	s_wait_alu 0xfffd
	v_add_co_ci_u32_e32 v42, vcc_lo, s11, v23, vcc_lo
	v_mul_lo_u16 v22, v59, 48
	v_lshlrev_b32_e32 v202, 3, v20
	v_mul_lo_u16 v20, v46, 48
	v_lshlrev_b32_e32 v199, 3, v21
	v_mul_lo_u16 v21, v45, 48
	v_mul_lo_u16 v23, v44, 48
	v_lshrrev_b32_e32 v28, 4, v19
	v_lshlrev_b32_e32 v204, 3, v26
	v_sub_nc_u16 v25, v18, v22
	v_sub_nc_u16 v26, v11, v20
	;; [unrolled: 1-line block ×4, first 2 shown]
	ds_load_2addr_b64 v[17:20], v14 offset0:80 offset1:136
	v_and_b32_e32 v35, 0xffff, v16
	v_mul_u32_u24_e32 v28, 48, v28
	v_and_b32_e32 v62, 0xff, v25
	v_and_b32_e32 v63, 0xff, v26
	;; [unrolled: 1-line block ×3, first 2 shown]
	v_mul_u32_u24_e32 v34, 0xaaab, v35
	v_or_b32_e32 v24, v28, v24
	ds_load_2addr_b64 v[25:28], v14 offset0:192 offset1:248
	v_lshlrev_b32_e32 v206, 3, v36
	v_lshlrev_b16 v65, 4, v60
	v_lshrrev_b32_e32 v9, 21, v34
	v_lshlrev_b32_e32 v203, 3, v24
	v_cmp_lt_u16_e32 vcc_lo, 47, v10
	s_delay_alu instid0(VALU_DEP_3) | instskip(NEXT) | instid1(VALU_DEP_1)
	v_mul_lo_u16 v24, v9, 48
	v_sub_nc_u16 v61, v16, v24
	ds_load_2addr_b64 v[21:24], v13 offset0:160 offset1:216
	ds_load_2addr_b64 v[29:32], v12 offset0:16 offset1:72
	ds_load_2addr_b64 v[33:36], v163 offset1:56
	ds_load_2addr_b64 v[37:40], v163 offset0:112 offset1:168
	ds_load_2addr_b64 v[47:50], v15 offset0:96 offset1:152
	;; [unrolled: 1-line block ×4, first 2 shown]
	global_wb scope:SCOPE_SE
	s_wait_loadcnt_dscnt 0x0
	s_barrier_signal -1
	s_barrier_wait -1
	global_inv scope:SCOPE_SE
	v_lshlrev_b16 v66, 4, v61
	v_mad_u16 v9, 0x90, v9, v61
	v_mul_f32_e32 v68, v22, v3
	v_mul_f32_e32 v16, v18, v1
	v_mul_f32_e32 v43, v17, v1
	v_dual_mul_f32 v69, v21, v3 :: v_dual_mul_f32 v70, v20, v152
	v_dual_mul_f32 v71, v19, v152 :: v_dual_mul_f32 v72, v24, v154
	v_mul_f32_e32 v85, v55, v3
	v_dual_mul_f32 v73, v23, v154 :: v_dual_mul_f32 v74, v26, v1
	v_mul_f32_e32 v76, v30, v3
	v_mul_f32_e32 v81, v31, v7
	v_lshlrev_b32_e32 v67, 4, v62
	v_mul_f32_e32 v75, v25, v1
	v_dual_mul_f32 v77, v29, v3 :: v_dual_mul_f32 v78, v28, v5
	v_dual_mul_f32 v87, v53, v155 :: v_dual_mul_f32 v82, v52, v1
	v_fmac_f32_e32 v43, v18, v0
	v_dual_mul_f32 v79, v27, v5 :: v_dual_mul_f32 v80, v32, v7
	v_mul_f32_e32 v89, v57, v184
	v_dual_mul_f32 v83, v51, v1 :: v_dual_mul_f32 v84, v56, v3
	v_fmac_f32_e32 v69, v22, v2
	v_dual_mul_f32 v86, v54, v155 :: v_dual_fmac_f32 v73, v24, v156
	v_dual_mul_f32 v88, v58, v184 :: v_dual_fmac_f32 v71, v20, v171
	v_fma_f32 v16, v17, v0, -v16
	v_fma_f32 v17, v19, v171, -v70
	;; [unrolled: 1-line block ×6, first 2 shown]
	v_fmac_f32_e32 v75, v26, v0
	v_fmac_f32_e32 v77, v30, v2
	v_fma_f32 v21, v27, v4, -v78
	v_fma_f32 v23, v51, v0, -v82
	v_fmac_f32_e32 v79, v28, v4
	v_fma_f32 v26, v31, v6, -v80
	v_fmac_f32_e32 v81, v32, v6
	v_fma_f32 v28, v55, v2, -v84
	v_fma_f32 v24, v53, v151, -v86
	v_dual_fmac_f32 v87, v54, v151 :: v_dual_sub_f32 v72, v19, v22
	v_fma_f32 v32, v57, v153, -v88
	v_dual_fmac_f32 v89, v58, v153 :: v_dual_add_f32 v54, v36, v71
	v_dual_add_f32 v25, v33, v16 :: v_dual_add_f32 v74, v39, v21
	v_dual_add_f32 v30, v43, v69 :: v_dual_fmac_f32 v83, v52, v0
	v_dual_fmac_f32 v85, v56, v2 :: v_dual_add_f32 v70, v38, v75
	v_dual_add_f32 v55, v71, v73 :: v_dual_add_f32 v94, v50, v87
	v_sub_f32_e32 v56, v17, v20
	v_add_f32_e32 v58, v19, v22
	v_dual_add_f32 v27, v16, v18 :: v_dual_sub_f32 v76, v79, v81
	v_dual_add_f32 v52, v17, v20 :: v_dual_sub_f32 v51, v43, v69
	v_add_f32_e32 v78, v40, v79
	v_dual_add_f32 v29, v34, v43 :: v_dual_sub_f32 v80, v21, v26
	v_dual_sub_f32 v43, v16, v18 :: v_dual_add_f32 v82, v47, v23
	v_dual_sub_f32 v53, v71, v73 :: v_dual_add_f32 v92, v24, v32
	v_dual_add_f32 v71, v75, v77 :: v_dual_add_f32 v16, v25, v18
	v_dual_add_f32 v57, v37, v19 :: v_dual_add_f32 v84, v23, v28
	v_sub_f32_e32 v68, v75, v77
	v_dual_add_f32 v31, v35, v17 :: v_dual_add_f32 v88, v48, v83
	v_dual_add_f32 v75, v21, v26 :: v_dual_sub_f32 v86, v83, v85
	v_dual_add_f32 v79, v79, v81 :: v_dual_fmac_f32 v36, -0.5, v55
	v_dual_add_f32 v83, v83, v85 :: v_dual_add_f32 v22, v57, v22
	s_delay_alu instid0(VALU_DEP_2)
	v_dual_sub_f32 v93, v87, v89 :: v_dual_fmac_f32 v40, -0.5, v79
	v_add_f32_e32 v87, v87, v89
	v_fma_f32 v18, -0.5, v27, v33
	v_fma_f32 v19, -0.5, v30, v34
	;; [unrolled: 1-line block ×3, first 2 shown]
	v_dual_sub_f32 v90, v23, v28 :: v_dual_add_f32 v17, v29, v69
	v_dual_add_f32 v91, v49, v24 :: v_dual_add_f32 v26, v74, v26
	v_fma_f32 v25, -0.5, v71, v38
	v_add_f32_e32 v28, v82, v28
	v_dual_sub_f32 v95, v24, v32 :: v_dual_fmac_f32 v50, -0.5, v87
	v_fma_f32 v24, -0.5, v58, v37
	v_dual_add_f32 v20, v31, v20 :: v_dual_add_f32 v21, v54, v73
	v_fma_f32 v39, -0.5, v75, v39
	v_fma_f32 v30, -0.5, v84, v47
	v_dual_add_f32 v29, v88, v85 :: v_dual_fmamk_f32 v38, v43, 0xbf5db3d7, v19
	v_fma_f32 v31, -0.5, v83, v48
	v_fma_f32 v49, -0.5, v92, v49
	v_fmamk_f32 v37, v51, 0x3f5db3d7, v18
	v_dual_add_f32 v27, v78, v81 :: v_dual_fmac_f32 v18, 0xbf5db3d7, v51
	v_fmac_f32_e32 v19, 0x3f5db3d7, v43
	v_dual_add_f32 v33, v94, v89 :: v_dual_fmamk_f32 v48, v56, 0xbf5db3d7, v36
	v_fmamk_f32 v47, v53, 0x3f5db3d7, v35
	v_fmac_f32_e32 v35, 0xbf5db3d7, v53
	v_dual_fmac_f32 v36, 0x3f5db3d7, v56 :: v_dual_add_f32 v23, v70, v77
	v_dual_add_f32 v32, v91, v32 :: v_dual_fmamk_f32 v51, v68, 0x3f5db3d7, v24
	v_fmamk_f32 v52, v72, 0xbf5db3d7, v25
	v_fmac_f32_e32 v24, 0xbf5db3d7, v68
	v_fmac_f32_e32 v25, 0x3f5db3d7, v72
	v_fmamk_f32 v53, v76, 0x3f5db3d7, v39
	v_dual_fmac_f32 v39, 0xbf5db3d7, v76 :: v_dual_fmamk_f32 v54, v80, 0xbf5db3d7, v40
	v_fmac_f32_e32 v40, 0x3f5db3d7, v80
	v_fmamk_f32 v55, v86, 0x3f5db3d7, v30
	v_fmac_f32_e32 v30, 0xbf5db3d7, v86
	v_fmamk_f32 v56, v90, 0xbf5db3d7, v31
	;; [unrolled: 2-line block ×3, first 2 shown]
	v_dual_fmac_f32 v49, 0xbf5db3d7, v93 :: v_dual_fmamk_f32 v58, v95, 0xbf5db3d7, v50
	v_fmac_f32_e32 v50, 0x3f5db3d7, v95
	ds_store_2addr_b64 v206, v[16:17], v[37:38] offset1:16
	ds_store_b64 v206, v[18:19] offset:256
	ds_store_2addr_b64 v205, v[20:21], v[47:48] offset1:16
	ds_store_b64 v205, v[35:36] offset:256
	;; [unrolled: 2-line block ×6, first 2 shown]
	v_lshlrev_b32_e32 v16, 4, v63
	v_lshlrev_b32_e32 v18, 4, v64
	global_wb scope:SCOPE_SE
	s_wait_dscnt 0x0
	s_barrier_signal -1
	s_barrier_wait -1
	global_inv scope:SCOPE_SE
	s_clause 0x1
	global_load_b128 v[32:35], v16, s[10:11] offset:368
	global_load_b128 v[28:31], v18, s[10:11] offset:368
	v_and_b32_e32 v17, 0xffff, v65
	v_and_b32_e32 v19, 0xffff, v66
	s_clause 0x1
	global_load_b128 v[40:43], v[41:42], off offset:368
	global_load_b128 v[36:39], v67, s[10:11] offset:368
	v_and_b32_e32 v45, 0xffff, v45
	v_add_co_u32 v16, s2, s10, v17
	s_wait_alu 0xf1ff
	v_add_co_ci_u32_e64 v17, null, s11, 0, s2
	v_add_co_u32 v18, s2, s10, v19
	s_wait_alu 0xf1ff
	v_add_co_ci_u32_e64 v19, null, s11, 0, s2
	s_clause 0x1
	global_load_b128 v[24:27], v[16:17], off offset:368
	global_load_b128 v[20:23], v[18:19], off offset:368
	ds_load_2addr_b64 v[52:55], v14 offset0:192 offset1:248
	s_wait_alu 0xfffd
	v_cndmask_b32_e64 v17, 0, 0x90, vcc_lo
	v_and_b32_e32 v18, 0xffff, v59
	v_and_b32_e32 v19, 0xffff, v46
	ds_load_2addr_b64 v[48:51], v13 offset0:160 offset1:216
	v_add_nc_u32_e32 v16, 0x1400, v163
	v_add_lshl_u32 v212, v8, v17, 3
	v_mul_u32_u24_e32 v8, 0x90, v18
	v_mad_u16 v17, 0x90, v44, v60
	s_load_b64 s[2:3], s[0:1], 0x38
	v_add_co_u32 v157, s0, s8, v163
	s_delay_alu instid0(VALU_DEP_3)
	v_add_lshl_u32 v211, v8, v62, 3
	v_and_b32_e32 v8, 0xffff, v9
	s_wait_alu 0xf1ff
	v_add_co_ci_u32_e64 v158, null, s9, 0, s0
	v_cmp_gt_u16_e32 vcc_lo, 32, v10
	s_wait_loadcnt_dscnt 0x501
	v_mul_f32_e32 v82, v53, v33
	s_wait_loadcnt 0x4
	v_mul_f32_e32 v86, v55, v29
	v_mul_u32_u24_e32 v18, 0x90, v19
	v_mul_u32_u24_e32 v19, 0x90, v45
	ds_load_2addr_b64 v[44:47], v14 offset0:80 offset1:136
	s_wait_loadcnt_dscnt 0x201
	v_dual_mul_f32 v80, v51, v39 :: v_dual_mul_f32 v83, v52, v33
	v_add_lshl_u32 v210, v18, v63, 3
	v_add_lshl_u32 v209, v19, v64, 3
	ds_load_2addr_b64 v[56:59], v12 offset0:16 offset1:72
	ds_load_2addr_b64 v[60:63], v163 offset1:56
	ds_load_2addr_b64 v[64:67], v163 offset0:112 offset1:168
	ds_load_2addr_b64 v[68:71], v15 offset0:96 offset1:152
	;; [unrolled: 1-line block ×4, first 2 shown]
	v_and_b32_e32 v17, 0xffff, v17
	v_mul_f32_e32 v87, v54, v29
	v_mul_f32_e32 v15, v49, v43
	;; [unrolled: 1-line block ×3, first 2 shown]
	global_wb scope:SCOPE_SE
	s_wait_loadcnt_dscnt 0x0
	s_wait_kmcnt 0x0
	s_barrier_signal -1
	s_barrier_wait -1
	v_fma_f32 v15, v48, v42, -v15
	global_inv scope:SCOPE_SE
	v_mul_f32_e32 v9, v44, v41
	v_mul_f32_e32 v18, v47, v37
	v_dual_mul_f32 v19, v46, v37 :: v_dual_mul_f32 v84, v57, v35
	v_dual_mul_f32 v90, v73, v25 :: v_dual_mul_f32 v85, v56, v35
	v_mul_f32_e32 v94, v75, v21
	v_mul_f32_e32 v88, v59, v31
	;; [unrolled: 1-line block ×3, first 2 shown]
	v_dual_mul_f32 v17, v48, v43 :: v_dual_lshlrev_b32 v208, 3, v17
	v_dual_mul_f32 v8, v45, v41 :: v_dual_lshlrev_b32 v207, 3, v8
	v_mul_f32_e32 v96, v79, v23
	v_fmac_f32_e32 v87, v55, v28
	v_fma_f32 v18, v46, v36, -v18
	v_fmac_f32_e32 v83, v53, v32
	v_fma_f32 v8, v44, v40, -v8
	v_mul_f32_e32 v95, v74, v21
	v_fma_f32 v44, v50, v38, -v80
	v_mul_f32_e32 v91, v72, v25
	v_fma_f32 v46, v54, v28, -v86
	v_fmac_f32_e32 v85, v57, v34
	v_fma_f32 v48, v58, v30, -v88
	v_fma_f32 v50, v74, v20, -v94
	v_dual_add_f32 v86, v67, v87 :: v_dual_fmac_f32 v9, v45, v40
	v_fma_f32 v45, v52, v32, -v82
	v_mul_f32_e32 v97, v78, v23
	v_fmac_f32_e32 v19, v47, v36
	v_fma_f32 v47, v56, v34, -v84
	v_fmac_f32_e32 v17, v49, v42
	v_dual_fmac_f32 v81, v51, v38 :: v_dual_add_f32 v84, v46, v48
	v_fma_f32 v49, v72, v24, -v90
	v_fma_f32 v52, v76, v26, -v92
	;; [unrolled: 1-line block ×3, first 2 shown]
	v_add_f32_e32 v72, v18, v44
	v_dual_fmac_f32 v91, v73, v24 :: v_dual_add_f32 v100, v70, v50
	v_dual_add_f32 v74, v64, v45 :: v_dual_fmac_f32 v97, v79, v22
	v_add_f32_e32 v94, v49, v52
	v_dual_sub_f32 v78, v83, v85 :: v_dual_mul_f32 v89, v58, v31
	v_add_f32_e32 v56, v61, v9
	v_dual_sub_f32 v58, v8, v15 :: v_dual_fmac_f32 v95, v75, v20
	v_add_f32_e32 v98, v69, v91
	v_sub_f32_e32 v82, v45, v47
	v_dual_mul_f32 v93, v76, v27 :: v_dual_sub_f32 v76, v19, v81
	v_dual_fmac_f32 v89, v59, v30 :: v_dual_sub_f32 v90, v46, v48
	s_delay_alu instid0(VALU_DEP_2)
	v_dual_add_f32 v92, v68, v49 :: v_dual_fmac_f32 v93, v77, v26
	v_dual_add_f32 v104, v95, v97 :: v_dual_add_f32 v51, v60, v8
	v_dual_add_f32 v53, v8, v15 :: v_dual_sub_f32 v102, v50, v54
	v_add_f32_e32 v73, v63, v19
	v_sub_f32_e32 v88, v87, v89
	v_add_f32_e32 v80, v83, v85
	v_add_f32_e32 v57, v9, v17
	v_sub_f32_e32 v96, v91, v93
	v_dual_sub_f32 v55, v9, v17 :: v_dual_add_f32 v8, v51, v15
	v_sub_f32_e32 v99, v49, v52
	v_dual_add_f32 v52, v92, v52 :: v_dual_add_f32 v59, v62, v18
	v_fma_f32 v62, -0.5, v72, v62
	v_add_f32_e32 v79, v65, v83
	v_add_f32_e32 v83, v66, v46
	;; [unrolled: 1-line block ×3, first 2 shown]
	v_fma_f32 v66, -0.5, v84, v66
	v_add_f32_e32 v101, v50, v54
	v_fma_f32 v72, -0.5, v94, v68
	v_add_f32_e32 v19, v19, v81
	v_add_f32_e32 v87, v87, v89
	;; [unrolled: 1-line block ×3, first 2 shown]
	v_sub_f32_e32 v95, v95, v97
	v_dual_add_f32 v9, v56, v17 :: v_dual_add_f32 v46, v83, v48
	v_fma_f32 v48, -0.5, v53, v60
	v_dual_sub_f32 v77, v18, v44 :: v_dual_add_f32 v18, v73, v81
	v_fma_f32 v50, -0.5, v75, v64
	v_dual_add_f32 v91, v91, v93 :: v_dual_fmamk_f32 v60, v88, 0x3f5db3d7, v66
	v_fma_f32 v70, -0.5, v101, v70
	v_dual_fmamk_f32 v64, v96, 0x3f5db3d7, v72 :: v_dual_add_f32 v17, v59, v44
	v_add_f32_e32 v44, v74, v47
	v_fma_f32 v49, -0.5, v57, v61
	v_dual_add_f32 v74, v100, v54 :: v_dual_fmac_f32 v63, -0.5, v19
	v_fma_f32 v51, -0.5, v80, v65
	v_dual_fmac_f32 v71, -0.5, v104 :: v_dual_fmamk_f32 v54, v55, 0x3f5db3d7, v48
	s_delay_alu instid0(VALU_DEP_4)
	v_dual_fmac_f32 v48, 0xbf5db3d7, v55 :: v_dual_fmamk_f32 v55, v58, 0xbf5db3d7, v49
	v_dual_fmac_f32 v49, 0x3f5db3d7, v58 :: v_dual_fmamk_f32 v56, v76, 0x3f5db3d7, v62
	v_dual_fmac_f32 v62, 0xbf5db3d7, v76 :: v_dual_fmac_f32 v67, -0.5, v87
	v_fmamk_f32 v58, v78, 0x3f5db3d7, v50
	v_fma_f32 v73, -0.5, v91, v69
	v_fmamk_f32 v57, v77, 0xbf5db3d7, v63
	v_fmac_f32_e32 v63, 0x3f5db3d7, v77
	v_add_f32_e32 v45, v79, v85
	v_fmamk_f32 v59, v82, 0xbf5db3d7, v51
	v_dual_add_f32 v47, v86, v89 :: v_dual_fmamk_f32 v68, v95, 0x3f5db3d7, v70
	v_dual_add_f32 v53, v98, v93 :: v_dual_fmac_f32 v50, 0xbf5db3d7, v78
	v_fmac_f32_e32 v51, 0x3f5db3d7, v82
	v_dual_fmac_f32 v66, 0xbf5db3d7, v88 :: v_dual_add_f32 v75, v103, v97
	v_fmamk_f32 v61, v90, 0xbf5db3d7, v67
	v_fmac_f32_e32 v67, 0x3f5db3d7, v90
	v_dual_fmac_f32 v72, 0xbf5db3d7, v96 :: v_dual_fmamk_f32 v65, v99, 0xbf5db3d7, v73
	v_fmac_f32_e32 v73, 0x3f5db3d7, v99
	v_dual_fmac_f32 v70, 0xbf5db3d7, v95 :: v_dual_fmamk_f32 v69, v102, 0xbf5db3d7, v71
	v_fmac_f32_e32 v71, 0x3f5db3d7, v102
	ds_store_2addr_b64 v212, v[8:9], v[54:55] offset1:48
	ds_store_b64 v212, v[48:49] offset:768
	ds_store_2addr_b64 v211, v[17:18], v[56:57] offset1:48
	ds_store_b64 v211, v[62:63] offset:768
	;; [unrolled: 2-line block ×6, first 2 shown]
	global_wb scope:SCOPE_SE
	s_wait_dscnt 0x0
	s_barrier_signal -1
	s_barrier_wait -1
	global_inv scope:SCOPE_SE
	ds_load_2addr_b64 v[76:79], v163 offset1:56
	ds_load_2addr_b64 v[104:107], v163 offset0:144 offset1:200
	ds_load_2addr_b64 v[100:103], v14 offset0:32 offset1:88
	;; [unrolled: 1-line block ×6, first 2 shown]
                                        ; implicit-def: $vgpr82
	s_and_saveexec_b32 s0, vcc_lo
	s_cbranch_execz .LBB0_3
; %bb.2:
	v_add_nc_u32_e32 v8, 0x200, v163
	v_add_nc_u32_e32 v9, 0xc00, v163
	ds_load_2addr_b64 v[80:83], v16 offset0:48 offset1:192
	ds_load_2addr_b64 v[72:75], v8 offset0:48 offset1:192
	;; [unrolled: 1-line block ×3, first 2 shown]
	ds_load_b64 v[159:160], v163 offset:7808
.LBB0_3:
	s_wait_alu 0xfffe
	s_or_b32 exec_lo, exec_lo, s0
	v_mad_co_u64_u32 v[8:9], null, v164, 48, s[10:11]
	s_clause 0x5
	global_load_b128 v[64:67], v[8:9], off offset:1136
	global_load_b128 v[56:59], v[8:9], off offset:1152
	;; [unrolled: 1-line block ×6, first 2 shown]
	v_subrev_nc_u32_e32 v8, 32, v164
	v_lshlrev_b32_e32 v215, 3, v213
	s_delay_alu instid0(VALU_DEP_2) | instskip(NEXT) | instid1(VALU_DEP_1)
	v_dual_cndmask_b32 v8, v8, v11 :: v_dual_lshlrev_b32 v213, 3, v214
	v_mul_i32_i24_e32 v9, 48, v8
	v_mul_hi_i32_i24_e32 v8, 48, v8
	s_delay_alu instid0(VALU_DEP_2) | instskip(SKIP_1) | instid1(VALU_DEP_2)
	v_add_co_u32 v16, s0, s10, v9
	s_wait_alu 0xf1ff
	v_add_co_ci_u32_e64 v17, s0, s11, v8, s0
	s_clause 0x2
	global_load_b128 v[12:15], v[16:17], off offset:1136
	global_load_b128 v[8:11], v[16:17], off offset:1152
	;; [unrolled: 1-line block ×3, first 2 shown]
	s_wait_loadcnt_dscnt 0x805
	v_mul_f32_e32 v214, v105, v65
	s_wait_dscnt 0x4
	v_dual_mul_f32 v216, v104, v65 :: v_dual_mul_f32 v217, v101, v67
	s_wait_loadcnt_dscnt 0x600
	v_dual_mul_f32 v224, v84, v45 :: v_dual_mul_f32 v225, v93, v47
	v_dual_mul_f32 v220, v96, v57 :: v_dual_mul_f32 v221, v89, v59
	v_dual_mul_f32 v222, v88, v59 :: v_dual_mul_f32 v223, v85, v45
	s_wait_loadcnt 0x4
	v_dual_mul_f32 v230, v102, v63 :: v_dual_mul_f32 v231, v99, v53
	v_dual_mul_f32 v232, v98, v53 :: v_dual_mul_f32 v233, v91, v55
	s_wait_loadcnt 0x3
	v_dual_mul_f32 v234, v90, v55 :: v_dual_mul_f32 v235, v87, v49
	v_dual_mul_f32 v236, v86, v49 :: v_dual_mul_f32 v237, v95, v51
	v_fma_f32 v104, v104, v64, -v214
	v_fmac_f32_e32 v224, v85, v44
	v_fma_f32 v85, v92, v46, -v225
	v_mul_f32_e32 v238, v94, v51
	v_dual_mul_f32 v218, v100, v67 :: v_dual_mul_f32 v219, v97, v57
	v_dual_mul_f32 v226, v92, v47 :: v_dual_mul_f32 v227, v107, v61
	;; [unrolled: 1-line block ×3, first 2 shown]
	v_fma_f32 v100, v100, v66, -v217
	v_fma_f32 v88, v88, v58, -v221
	;; [unrolled: 1-line block ×3, first 2 shown]
	s_wait_loadcnt 0x2
	v_dual_fmac_f32 v234, v91, v54 :: v_dual_mul_f32 v217, v69, v15
	v_dual_add_f32 v91, v104, v85 :: v_dual_fmac_f32 v238, v95, v50
	s_wait_loadcnt 0x1
	v_dual_mul_f32 v221, v81, v11 :: v_dual_fmac_f32 v232, v99, v52
	v_fmac_f32_e32 v230, v103, v62
	v_fmac_f32_e32 v236, v87, v48
	v_dual_fmac_f32 v216, v105, v64 :: v_dual_sub_f32 v85, v104, v85
	v_fmac_f32_e32 v218, v101, v66
	v_fma_f32 v96, v96, v56, -v219
	s_delay_alu instid0(VALU_DEP_4) | instskip(SKIP_3) | instid1(VALU_DEP_4)
	v_dual_fmac_f32 v226, v93, v46 :: v_dual_add_f32 v105, v230, v236
	v_fmac_f32_e32 v220, v97, v56
	v_fma_f32 v87, v94, v50, -v237
	v_add_f32_e32 v97, v100, v84
	v_sub_f32_e32 v95, v216, v226
	v_dual_fmac_f32 v222, v89, v58 :: v_dual_sub_f32 v99, v218, v224
	v_fma_f32 v89, v106, v60, -v227
	v_fmac_f32_e32 v228, v107, v60
	v_fma_f32 v92, v102, v62, -v229
	v_fma_f32 v93, v98, v52, -v231
	;; [unrolled: 1-line block ×4, first 2 shown]
	s_wait_loadcnt 0x0
	v_dual_sub_f32 v84, v100, v84 :: v_dual_mul_f32 v223, v83, v17
	v_dual_add_f32 v100, v96, v88 :: v_dual_add_f32 v227, v97, v91
	v_dual_add_f32 v101, v220, v222 :: v_dual_add_f32 v102, v89, v87
	v_sub_f32_e32 v87, v89, v87
	v_dual_add_f32 v103, v228, v238 :: v_dual_add_f32 v98, v218, v224
	v_add_f32_e32 v107, v232, v234
	v_dual_sub_f32 v88, v88, v96 :: v_dual_sub_f32 v229, v97, v91
	v_dual_sub_f32 v96, v222, v220 :: v_dual_mul_f32 v225, v160, v19
	v_sub_f32_e32 v89, v228, v238
	v_add_f32_e32 v104, v92, v86
	v_sub_f32_e32 v86, v92, v86
	v_dual_add_f32 v106, v93, v90 :: v_dual_add_f32 v231, v88, v84
	v_dual_sub_f32 v90, v90, v93 :: v_dual_sub_f32 v233, v88, v84
	v_sub_f32_e32 v93, v234, v232
	v_dual_sub_f32 v92, v230, v236 :: v_dual_sub_f32 v97, v100, v97
	v_mul_f32_e32 v218, v68, v15
	v_add_f32_e32 v236, v105, v103
	v_dual_sub_f32 v238, v105, v103 :: v_dual_sub_f32 v105, v107, v105
	v_dual_add_f32 v94, v216, v226 :: v_dual_mul_f32 v219, v71, v9
	v_dual_sub_f32 v91, v91, v100 :: v_dual_add_f32 v232, v96, v99
	v_sub_f32_e32 v103, v103, v107
	v_dual_mul_f32 v226, v159, v19 :: v_dual_sub_f32 v241, v90, v86
	v_fma_f32 v68, v68, v14, -v217
	v_dual_mul_f32 v217, 0x3d64c772, v105 :: v_dual_sub_f32 v234, v96, v99
	v_add_f32_e32 v107, v107, v236
	v_sub_f32_e32 v99, v99, v95
	v_dual_mul_f32 v214, v75, v13 :: v_dual_add_f32 v235, v104, v102
	v_dual_mul_f32 v216, v74, v13 :: v_dual_sub_f32 v237, v104, v102
	v_dual_mul_f32 v222, v80, v11 :: v_dual_add_f32 v239, v90, v86
	v_add_f32_e32 v228, v98, v94
	s_delay_alu instid0(VALU_DEP_4) | instskip(NEXT) | instid1(VALU_DEP_4)
	v_fma_f32 v74, v74, v12, -v214
	v_fmac_f32_e32 v216, v75, v12
	v_fma_f32 v75, v159, v18, -v225
	v_sub_f32_e32 v242, v93, v92
	v_fmac_f32_e32 v226, v160, v18
	v_sub_f32_e32 v86, v86, v87
	v_add_f32_e32 v240, v93, v92
	v_sub_f32_e32 v93, v89, v93
	v_mul_f32_e32 v220, v70, v9
	v_mul_f32_e32 v224, v82, v17
	v_sub_f32_e32 v84, v84, v85
	v_fmac_f32_e32 v222, v81, v10
	v_add_f32_e32 v81, v101, v228
	v_fmac_f32_e32 v220, v71, v8
	v_fma_f32 v71, v82, v16, -v223
	v_sub_f32_e32 v230, v98, v94
	v_sub_f32_e32 v88, v85, v88
	v_dual_sub_f32 v102, v102, v106 :: v_dual_mul_f32 v103, 0x3f4a47b2, v103
	v_sub_f32_e32 v92, v92, v89
	v_sub_f32_e32 v90, v87, v90
	v_fmac_f32_e32 v218, v69, v14
	v_fma_f32 v69, v70, v8, -v219
	v_fma_f32 v70, v80, v10, -v221
	v_fmac_f32_e32 v224, v83, v16
	v_dual_add_f32 v87, v239, v87 :: v_dual_sub_f32 v98, v101, v98
	v_dual_mul_f32 v159, 0x3f5ff5aa, v84 :: v_dual_sub_f32 v94, v94, v101
	v_dual_mul_f32 v101, 0xbf08b237, v234 :: v_dual_add_f32 v82, v231, v85
	v_sub_f32_e32 v231, v68, v71
	v_add_f32_e32 v228, v216, v226
	v_add_f32_e32 v80, v100, v227
	;; [unrolled: 1-line block ×3, first 2 shown]
	v_dual_sub_f32 v104, v106, v104 :: v_dual_mul_f32 v221, 0xbf08b237, v242
	v_add_f32_e32 v83, v232, v95
	v_mul_f32_e32 v85, 0x3f4a47b2, v91
	v_mul_f32_e32 v100, 0xbf08b237, v233
	v_dual_mul_f32 v219, 0xbf08b237, v241 :: v_dual_sub_f32 v74, v74, v75
	v_sub_f32_e32 v75, v216, v226
	v_dual_mul_f32 v223, 0x3f5ff5aa, v86 :: v_dual_sub_f32 v96, v95, v96
	v_add_f32_e32 v89, v240, v89
	v_mul_f32_e32 v95, 0x3d64c772, v98
	v_dual_mul_f32 v91, 0x3f4a47b2, v94 :: v_dual_add_f32 v216, v68, v71
	v_sub_f32_e32 v233, v70, v69
	v_add_f32_e32 v71, v79, v107
	v_dual_fmamk_f32 v79, v105, 0x3d64c772, v103 :: v_dual_add_f32 v226, v218, v224
	v_dual_sub_f32 v218, v218, v224 :: v_dual_fmamk_f32 v105, v93, 0x3eae86e6, v221
	v_add_f32_e32 v224, v69, v70
	v_dual_add_f32 v69, v77, v81 :: v_dual_add_f32 v232, v220, v222
	v_sub_f32_e32 v220, v222, v220
	v_mul_f32_e32 v160, 0x3f5ff5aa, v99
	v_fmamk_f32 v77, v98, 0x3d64c772, v91
	v_fma_f32 v95, 0x3f3bfb3b, v230, -v95
	v_fma_f32 v99, 0x3f5ff5aa, v99, -v101
	v_fmamk_f32 v81, v81, 0xbf955555, v69
	v_fmamk_f32 v98, v96, 0x3eae86e6, v101
	v_fma_f32 v101, 0xbeae86e6, v88, -v159
	v_fma_f32 v159, 0x3f5ff5aa, v86, -v219
	v_mul_f32_e32 v225, 0x3f5ff5aa, v92
	v_dual_add_f32 v95, v95, v81 :: v_dual_add_f32 v68, v76, v80
	v_fmac_f32_e32 v105, 0x3ee1c552, v89
	v_mul_f32_e32 v94, 0x3d64c772, v97
	v_fmac_f32_e32 v159, 0x3ee1c552, v87
	v_fmamk_f32 v76, v97, 0x3d64c772, v85
	v_fmamk_f32 v97, v88, 0x3eae86e6, v100
	v_fma_f32 v88, 0xbeae86e6, v96, -v160
	v_fma_f32 v96, 0x3f3bfb3b, v238, -v217
	;; [unrolled: 1-line block ×3, first 2 shown]
	v_mul_f32_e32 v102, 0x3f4a47b2, v102
	v_fmac_f32_e32 v97, 0x3ee1c552, v82
	v_mul_f32_e32 v214, 0x3d64c772, v104
	v_fma_f32 v103, 0xbf3bfb3b, v238, -v103
	v_fma_f32 v160, 0x3f5ff5aa, v92, -v221
	v_sub_f32_e32 v221, v228, v232
	v_fma_f32 v100, 0x3f5ff5aa, v84, -v100
	v_fma_f32 v84, 0x3f3bfb3b, v237, -v214
	;; [unrolled: 1-line block ×3, first 2 shown]
	v_add_f32_e32 v223, v233, v231
	v_fmac_f32_e32 v98, 0x3ee1c552, v83
	v_fmac_f32_e32 v99, 0x3ee1c552, v83
	;; [unrolled: 1-line block ×3, first 2 shown]
	v_fmamk_f32 v83, v107, 0xbf955555, v71
	v_dual_fmac_f32 v217, 0x3ee1c552, v89 :: v_dual_add_f32 v106, v106, v235
	v_fma_f32 v85, 0xbf3bfb3b, v229, -v85
	v_sub_f32_e32 v93, v226, v228
	v_dual_add_f32 v223, v223, v74 :: v_dual_fmamk_f32 v80, v80, 0xbf955555, v68
	s_delay_alu instid0(VALU_DEP_4)
	v_dual_add_f32 v103, v103, v83 :: v_dual_add_f32 v70, v78, v106
	v_sub_f32_e32 v222, v232, v226
	v_fmamk_f32 v78, v104, 0x3d64c772, v102
	v_dual_fmamk_f32 v104, v90, 0x3eae86e6, v219 :: v_dual_sub_f32 v219, v227, v224
	v_fma_f32 v94, 0x3f3bfb3b, v229, -v94
	v_dual_sub_f32 v229, v231, v74 :: v_dual_add_f32 v90, v226, v228
	v_fma_f32 v91, 0xbf3bfb3b, v230, -v91
	v_dual_add_f32 v225, v220, v218 :: v_dual_sub_f32 v226, v233, v231
	v_dual_sub_f32 v228, v74, v233 :: v_dual_add_f32 v231, v79, v83
	v_dual_fmac_f32 v101, 0x3ee1c552, v82 :: v_dual_add_f32 v86, v216, v227
	v_mul_f32_e32 v74, 0x3f4a47b2, v219
	v_mul_f32_e32 v219, 0x3f5ff5aa, v229
	v_add_f32_e32 v107, v232, v90
	v_sub_f32_e32 v92, v216, v227
	v_dual_sub_f32 v216, v224, v216 :: v_dual_add_f32 v91, v91, v81
	v_dual_sub_f32 v227, v220, v218 :: v_dual_sub_f32 v220, v75, v220
	v_add_f32_e32 v233, v96, v83
	s_delay_alu instid0(VALU_DEP_3)
	v_dual_sub_f32 v218, v218, v75 :: v_dual_sub_f32 v83, v91, v101
	v_dual_fmac_f32 v100, 0x3ee1c552, v82 :: v_dual_add_f32 v73, v73, v107
	v_fmamk_f32 v82, v106, 0xbf955555, v70
	v_fmac_f32_e32 v160, 0x3ee1c552, v89
	v_mul_f32_e32 v89, 0xbf08b237, v226
	v_add_f32_e32 v106, v224, v86
	v_dual_add_f32 v224, v225, v75 :: v_dual_mul_f32 v75, 0x3f4a47b2, v221
	v_fma_f32 v102, 0xbf3bfb3b, v237, -v102
	v_dual_add_f32 v225, v76, v80 :: v_dual_add_f32 v226, v77, v81
	v_fmac_f32_e32 v104, 0x3ee1c552, v87
	v_fmac_f32_e32 v214, 0x3ee1c552, v87
	v_fma_f32 v237, 0xbf3bfb3b, v93, -v75
	v_dual_mul_f32 v90, 0xbf08b237, v227 :: v_dual_add_f32 v227, v85, v80
	v_mul_f32_e32 v87, 0x3d64c772, v222
	v_dual_add_f32 v85, v100, v95 :: v_dual_add_f32 v230, v78, v82
	v_fma_f32 v78, 0x3f5ff5aa, v229, -v89
	v_mul_f32_e32 v86, 0x3d64c772, v216
	v_mul_f32_e32 v221, 0x3f5ff5aa, v218
	v_fmamk_f32 v222, v222, 0x3d64c772, v75
	v_fmamk_f32 v216, v216, 0x3d64c772, v74
	v_fma_f32 v235, 0x3f3bfb3b, v93, -v87
	v_fma_f32 v236, 0xbf3bfb3b, v92, -v74
	;; [unrolled: 1-line block ×3, first 2 shown]
	v_dual_sub_f32 v87, v95, v100 :: v_dual_fmac_f32 v78, 0x3ee1c552, v223
	v_dual_fmamk_f32 v74, v228, 0x3eae86e6, v89 :: v_dual_add_f32 v89, v101, v91
	v_dual_add_f32 v91, v97, v226 :: v_dual_add_f32 v94, v94, v80
	v_sub_f32_e32 v93, v231, v104
	v_sub_f32_e32 v95, v103, v214
	v_dual_add_f32 v102, v102, v82 :: v_dual_fmac_f32 v79, 0x3ee1c552, v224
	v_fma_f32 v234, 0x3f3bfb3b, v92, -v86
	v_fmamk_f32 v75, v220, 0x3eae86e6, v90
	v_add_f32_e32 v232, v84, v82
	v_fma_f32 v80, 0xbeae86e6, v228, -v219
	v_fma_f32 v81, 0xbeae86e6, v220, -v221
	s_delay_alu instid0(VALU_DEP_4)
	v_dual_add_f32 v92, v105, v230 :: v_dual_fmac_f32 v75, 0x3ee1c552, v224
	v_sub_f32_e32 v100, v102, v217
	v_add_f32_e32 v101, v214, v103
	v_sub_f32_e32 v77, v226, v97
	v_add_f32_e32 v76, v98, v225
	v_dual_add_f32 v97, v159, v233 :: v_dual_add_f32 v72, v72, v106
	v_fmac_f32_e32 v81, 0x3ee1c552, v224
	v_add_f32_e32 v103, v104, v231
	v_sub_f32_e32 v84, v94, v99
	v_add_f32_e32 v86, v99, v94
	v_add_f32_e32 v94, v217, v102
	v_dual_sub_f32 v102, v230, v105 :: v_dual_fmamk_f32 v105, v107, 0xbf955555, v73
	v_add_f32_e32 v82, v88, v227
	v_sub_f32_e32 v88, v227, v88
	v_sub_f32_e32 v90, v225, v98
	v_fmamk_f32 v104, v106, 0xbf955555, v72
	v_fmac_f32_e32 v80, 0x3ee1c552, v223
	ds_store_b64 v163, v[76:77] offset:1152
	ds_store_b64 v163, v[82:83] offset:2304
	;; [unrolled: 1-line block ×6, first 2 shown]
	ds_store_2addr_b64 v163, v[68:69], v[70:71] offset1:56
	ds_store_b64 v163, v[92:93] offset:1600
	v_add_f32_e32 v86, v235, v105
	v_add_f32_e32 v87, v237, v105
	;; [unrolled: 1-line block ×4, first 2 shown]
	s_delay_alu instid0(VALU_DEP_4)
	v_dual_sub_f32 v96, v232, v160 :: v_dual_sub_f32 v69, v86, v78
	v_fmac_f32_e32 v74, 0x3ee1c552, v223
	v_add_f32_e32 v71, v80, v87
	v_dual_add_f32 v85, v222, v105 :: v_dual_add_f32 v82, v216, v104
	v_add_f32_e32 v68, v79, v83
	v_sub_f32_e32 v70, v84, v81
	s_delay_alu instid0(VALU_DEP_3) | instskip(NEXT) | instid1(VALU_DEP_4)
	v_dual_add_f32 v98, v160, v232 :: v_dual_add_f32 v77, v74, v85
	v_sub_f32_e32 v76, v82, v75
	v_sub_f32_e32 v99, v233, v159
	ds_store_b64 v163, v[94:95] offset:2752
	ds_store_b64 v163, v[96:97] offset:3904
	;; [unrolled: 1-line block ×5, first 2 shown]
	s_and_saveexec_b32 s0, vcc_lo
	s_cbranch_execz .LBB0_5
; %bb.4:
	v_dual_add_f32 v89, v78, v86 :: v_dual_sub_f32 v88, v83, v79
	v_sub_f32_e32 v79, v87, v80
	v_add_f32_e32 v78, v81, v84
	v_sub_f32_e32 v81, v85, v74
	v_add_f32_e32 v80, v75, v82
	v_add_nc_u32_e32 v82, 0x1400, v163
	v_add_nc_u32_e32 v74, 0x200, v163
	;; [unrolled: 1-line block ×3, first 2 shown]
	ds_store_2addr_b64 v74, v[72:73], v[80:81] offset0:48 offset1:192
	ds_store_2addr_b64 v75, v[78:79], v[88:89] offset0:16 offset1:160
	;; [unrolled: 1-line block ×3, first 2 shown]
	ds_store_b64 v163, v[76:77] offset:7808
.LBB0_5:
	s_wait_alu 0xfffe
	s_or_b32 exec_lo, exec_lo, s0
	global_wb scope:SCOPE_SE
	s_wait_dscnt 0x0
	s_barrier_signal -1
	s_barrier_wait -1
	global_inv scope:SCOPE_SE
	global_load_b64 v[78:79], v[157:158], off offset:8064
	v_lshlrev_b32_e32 v214, 3, v164
	s_add_nc_u64 s[0:1], s[8:9], 0x1f80
	s_clause 0x2
	global_load_b64 v[80:81], v214, s[0:1] offset:448
	global_load_b64 v[82:83], v214, s[0:1] offset:896
	;; [unrolled: 1-line block ×3, first 2 shown]
	ds_load_2addr_b64 v[72:75], v163 offset1:56
	s_wait_loadcnt_dscnt 0x300
	v_mul_f32_e32 v87, v72, v79
	s_wait_loadcnt 0x2
	v_dual_mul_f32 v86, v73, v79 :: v_dual_mul_f32 v89, v74, v81
	s_delay_alu instid0(VALU_DEP_2) | instskip(NEXT) | instid1(VALU_DEP_2)
	v_fmac_f32_e32 v87, v73, v78
	v_fma_f32 v86, v72, v78, -v86
	v_mul_f32_e32 v72, v75, v81
	s_delay_alu instid0(VALU_DEP_4)
	v_dual_fmac_f32 v89, v75, v80 :: v_dual_add_nc_u32 v78, 0x1000, v163
	ds_store_b64 v163, v[86:87]
	v_fma_f32 v88, v74, v80, -v72
	s_clause 0x2
	global_load_b64 v[79:80], v214, s[0:1] offset:4480
	global_load_b64 v[86:87], v214, s[0:1] offset:4928
	;; [unrolled: 1-line block ×3, first 2 shown]
	ds_load_2addr_b64 v[72:75], v78 offset0:48 offset1:104
	s_wait_loadcnt_dscnt 0x200
	v_mul_f32_e32 v81, v73, v80
	v_mul_f32_e32 v93, v72, v80
	s_wait_loadcnt 0x1
	v_mul_f32_e32 v95, v74, v87
	s_delay_alu instid0(VALU_DEP_3) | instskip(SKIP_2) | instid1(VALU_DEP_4)
	v_fma_f32 v92, v72, v79, -v81
	v_mul_f32_e32 v72, v75, v87
	v_fmac_f32_e32 v93, v73, v79
	v_fmac_f32_e32 v95, v75, v86
	s_delay_alu instid0(VALU_DEP_3)
	v_fma_f32 v94, v74, v86, -v72
	ds_load_2addr_b64 v[72:75], v163 offset0:112 offset1:168
	s_wait_dscnt 0x0
	v_mul_f32_e32 v79, v73, v83
	v_mul_f32_e32 v87, v72, v83
	;; [unrolled: 1-line block ×3, first 2 shown]
	s_delay_alu instid0(VALU_DEP_3) | instskip(NEXT) | instid1(VALU_DEP_3)
	v_fma_f32 v86, v72, v82, -v79
	v_dual_mul_f32 v72, v75, v85 :: v_dual_fmac_f32 v87, v73, v82
	s_delay_alu instid0(VALU_DEP_3) | instskip(NEXT) | instid1(VALU_DEP_2)
	v_fmac_f32_e32 v97, v75, v84
	v_fma_f32 v96, v74, v84, -v72
	s_clause 0x3
	global_load_b64 v[79:80], v214, s[0:1] offset:5376
	global_load_b64 v[81:82], v214, s[0:1] offset:5824
	;; [unrolled: 1-line block ×4, first 2 shown]
	ds_load_2addr_b64 v[72:75], v78 offset0:160 offset1:216
	s_clause 0x3
	global_load_b64 v[102:103], v214, s[0:1] offset:1792
	global_load_b64 v[104:105], v214, s[0:1] offset:2240
	;; [unrolled: 1-line block ×4, first 2 shown]
	s_wait_loadcnt_dscnt 0x700
	v_mul_f32_e32 v83, v73, v80
	v_mul_f32_e32 v101, v72, v80
	s_delay_alu instid0(VALU_DEP_2) | instskip(SKIP_1) | instid1(VALU_DEP_2)
	v_fma_f32 v100, v72, v79, -v83
	s_wait_loadcnt 0x6
	v_dual_mul_f32 v72, v75, v82 :: v_dual_fmac_f32 v101, v73, v79
	s_delay_alu instid0(VALU_DEP_1) | instskip(SKIP_2) | instid1(VALU_DEP_2)
	v_fma_f32 v73, v74, v81, -v72
	v_mul_f32_e32 v74, v74, v82
	v_add_nc_u32_e32 v72, 0x400, v163
	v_fmac_f32_e32 v74, v75, v81
	ds_load_2addr_b64 v[79:82], v72 offset0:96 offset1:152
	s_wait_loadcnt_dscnt 0x300
	v_mul_f32_e32 v75, v80, v103
	s_wait_loadcnt 0x2
	v_dual_mul_f32 v160, v79, v103 :: v_dual_mul_f32 v103, v81, v105
	s_delay_alu instid0(VALU_DEP_2) | instskip(SKIP_1) | instid1(VALU_DEP_3)
	v_fma_f32 v159, v79, v102, -v75
	v_mul_f32_e32 v75, v82, v105
	v_dual_fmac_f32 v160, v80, v102 :: v_dual_add_nc_u32 v79, 0x1800, v163
	s_delay_alu instid0(VALU_DEP_4) | instskip(NEXT) | instid1(VALU_DEP_3)
	v_fmac_f32_e32 v103, v82, v104
	v_fma_f32 v102, v81, v104, -v75
	ds_load_2addr_b64 v[80:83], v79 offset0:16 offset1:72
	s_wait_dscnt 0x0
	v_mul_f32_e32 v75, v81, v85
	v_mul_f32_e32 v105, v80, v85
	;; [unrolled: 1-line block ×3, first 2 shown]
	s_delay_alu instid0(VALU_DEP_3) | instskip(SKIP_1) | instid1(VALU_DEP_4)
	v_fma_f32 v104, v80, v84, -v75
	v_mul_f32_e32 v75, v83, v99
	v_dual_fmac_f32 v105, v81, v84 :: v_dual_add_nc_u32 v80, 0x800, v163
	s_delay_alu instid0(VALU_DEP_4) | instskip(NEXT) | instid1(VALU_DEP_3)
	v_fmac_f32_e32 v217, v83, v98
	v_fma_f32 v216, v82, v98, -v75
	ds_load_2addr_b64 v[81:84], v80 offset0:80 offset1:136
	s_wait_loadcnt_dscnt 0x100
	v_mul_f32_e32 v75, v82, v107
	v_mul_f32_e32 v99, v81, v107
	s_wait_loadcnt 0x0
	v_mul_f32_e32 v107, v83, v158
	s_delay_alu instid0(VALU_DEP_3) | instskip(SKIP_2) | instid1(VALU_DEP_4)
	v_fma_f32 v98, v81, v106, -v75
	v_mul_f32_e32 v75, v84, v158
	v_fmac_f32_e32 v99, v82, v106
	v_fmac_f32_e32 v107, v84, v157
	s_delay_alu instid0(VALU_DEP_3)
	v_fma_f32 v106, v83, v157, -v75
	global_load_b64 v[157:158], v214, s[0:1] offset:3584
	ds_load_2addr_b64 v[81:84], v80 offset0:192 offset1:248
	s_wait_dscnt 0x0
	v_mul_f32_e32 v75, v84, v91
	v_mul_f32_e32 v219, v83, v91
	s_delay_alu instid0(VALU_DEP_2) | instskip(NEXT) | instid1(VALU_DEP_2)
	v_fma_f32 v218, v83, v90, -v75
	v_fmac_f32_e32 v219, v84, v90
	s_wait_loadcnt 0x0
	v_mul_f32_e32 v75, v82, v158
	v_mul_f32_e32 v91, v81, v158
	s_delay_alu instid0(VALU_DEP_2) | instskip(NEXT) | instid1(VALU_DEP_2)
	v_fma_f32 v90, v81, v157, -v75
	v_fmac_f32_e32 v91, v82, v157
	s_clause 0x1
	global_load_b64 v[157:158], v214, s[0:1] offset:7168
	global_load_b64 v[220:221], v214, s[0:1] offset:7616
	ds_load_2addr_b64 v[81:84], v79 offset0:128 offset1:184
	s_wait_loadcnt_dscnt 0x100
	v_mul_f32_e32 v75, v82, v158
	s_wait_loadcnt 0x0
	v_dual_mul_f32 v223, v81, v158 :: v_dual_mul_f32 v158, v83, v221
	s_delay_alu instid0(VALU_DEP_2) | instskip(SKIP_1) | instid1(VALU_DEP_3)
	v_fma_f32 v222, v81, v157, -v75
	v_mul_f32_e32 v75, v84, v221
	v_dual_fmac_f32 v223, v82, v157 :: v_dual_add_nc_u32 v82, 0xc00, v163
	s_delay_alu instid0(VALU_DEP_4) | instskip(NEXT) | instid1(VALU_DEP_3)
	v_dual_fmac_f32 v158, v84, v220 :: v_dual_add_nc_u32 v81, 0x1400, v163
	v_fma_f32 v157, v83, v220, -v75
	ds_store_2addr_b64 v82, v[218:219], v[92:93] offset0:120 offset1:176
	ds_store_2addr_b64 v163, v[88:89], v[86:87] offset0:56 offset1:112
	;; [unrolled: 1-line block ×8, first 2 shown]
	ds_store_b64 v163, v[157:158] offset:7616
	global_wb scope:SCOPE_SE
	s_wait_dscnt 0x0
	s_barrier_signal -1
	s_barrier_wait -1
	global_inv scope:SCOPE_SE
	ds_load_2addr_b64 v[83:86], v163 offset1:56
	ds_load_2addr_b64 v[87:90], v80 offset0:192 offset1:248
	ds_load_2addr_b64 v[93:96], v78 offset0:48 offset1:104
	;; [unrolled: 1-line block ×8, first 2 shown]
	global_wb scope:SCOPE_SE
	s_wait_dscnt 0x0
	s_barrier_signal -1
	s_barrier_wait -1
	global_inv scope:SCOPE_SE
	v_dual_sub_f32 v91, v83, v89 :: v_dual_sub_f32 v92, v84, v90
	s_delay_alu instid0(VALU_DEP_1) | instskip(NEXT) | instid1(VALU_DEP_2)
	v_fma_f32 v89, v83, 2.0, -v91
	v_fma_f32 v90, v84, 2.0, -v92
	ds_store_b128 v165, v[89:92]
	v_dual_sub_f32 v91, v85, v93 :: v_dual_sub_f32 v92, v86, v94
	s_delay_alu instid0(VALU_DEP_1) | instskip(NEXT) | instid1(VALU_DEP_2)
	v_fma_f32 v89, v85, 2.0, -v91
	v_fma_f32 v90, v86, 2.0, -v92
	v_dual_sub_f32 v85, v97, v95 :: v_dual_sub_f32 v86, v98, v96
	ds_store_b128 v201, v[89:92]
	v_fma_f32 v83, v97, 2.0, -v85
	v_fma_f32 v84, v98, 2.0, -v86
	ds_store_b128 v200, v[83:86]
	v_dual_sub_f32 v85, v99, v101 :: v_dual_sub_f32 v86, v100, v102
	s_delay_alu instid0(VALU_DEP_1) | instskip(NEXT) | instid1(VALU_DEP_2)
	v_fma_f32 v83, v99, 2.0, -v85
	v_fma_f32 v84, v100, 2.0, -v86
	ds_store_b128 v198, v[83:86]
	v_dual_sub_f32 v85, v157, v103 :: v_dual_sub_f32 v86, v158, v104
	s_delay_alu instid0(VALU_DEP_1) | instskip(NEXT) | instid1(VALU_DEP_2)
	;; [unrolled: 5-line block ×6, first 2 shown]
	v_fma_f32 v83, v87, 2.0, -v85
	v_fma_f32 v84, v88, 2.0, -v86
	ds_store_b128 v180, v[83:86]
	global_wb scope:SCOPE_SE
	s_wait_dscnt 0x0
	s_barrier_signal -1
	s_barrier_wait -1
	global_inv scope:SCOPE_SE
	ds_load_2addr_b64 v[83:86], v78 offset0:48 offset1:104
	s_wait_dscnt 0x0
	v_mul_f32_e32 v73, v146, v83
	v_mul_f32_e32 v75, v146, v84
	;; [unrolled: 1-line block ×3, first 2 shown]
	s_delay_alu instid0(VALU_DEP_3) | instskip(SKIP_1) | instid1(VALU_DEP_4)
	v_fma_f32 v101, v145, v84, -v73
	v_mul_f32_e32 v73, v146, v85
	v_fmac_f32_e32 v75, v145, v83
	s_delay_alu instid0(VALU_DEP_4) | instskip(NEXT) | instid1(VALU_DEP_3)
	v_fmac_f32_e32 v102, v145, v85
	v_fma_f32 v103, v145, v86, -v73
	ds_load_2addr_b64 v[83:86], v78 offset0:160 offset1:216
	s_wait_dscnt 0x0
	v_mul_f32_e32 v73, v146, v83
	v_mul_f32_e32 v104, v146, v84
	;; [unrolled: 1-line block ×3, first 2 shown]
	s_delay_alu instid0(VALU_DEP_3) | instskip(NEXT) | instid1(VALU_DEP_3)
	v_fma_f32 v105, v145, v84, -v73
	v_dual_mul_f32 v73, v146, v85 :: v_dual_fmac_f32 v104, v145, v83
	s_delay_alu instid0(VALU_DEP_3) | instskip(NEXT) | instid1(VALU_DEP_2)
	v_fmac_f32_e32 v106, v145, v85
	v_fma_f32 v107, v145, v86, -v73
	ds_load_2addr_b64 v[83:86], v79 offset0:16 offset1:72
	s_wait_dscnt 0x0
	v_mul_f32_e32 v73, v146, v83
	v_mul_f32_e32 v157, v146, v84
	;; [unrolled: 1-line block ×3, first 2 shown]
	s_delay_alu instid0(VALU_DEP_3) | instskip(SKIP_1) | instid1(VALU_DEP_4)
	v_fma_f32 v158, v145, v84, -v73
	v_mul_f32_e32 v73, v146, v85
	v_fmac_f32_e32 v157, v145, v83
	s_delay_alu instid0(VALU_DEP_4) | instskip(NEXT) | instid1(VALU_DEP_3)
	v_fmac_f32_e32 v159, v145, v85
	v_fma_f32 v160, v145, v86, -v73
	ds_load_2addr_b64 v[83:86], v79 offset0:128 offset1:184
	s_wait_dscnt 0x0
	v_mul_f32_e32 v73, v146, v83
	v_mul_f32_e32 v165, v146, v84
	;; [unrolled: 1-line block ×3, first 2 shown]
	s_delay_alu instid0(VALU_DEP_3) | instskip(SKIP_1) | instid1(VALU_DEP_4)
	v_fma_f32 v180, v145, v84, -v73
	v_mul_f32_e32 v73, v146, v85
	v_fmac_f32_e32 v165, v145, v83
	s_delay_alu instid0(VALU_DEP_4) | instskip(NEXT) | instid1(VALU_DEP_3)
	v_fmac_f32_e32 v193, v145, v85
	v_fma_f32 v195, v145, v86, -v73
	ds_load_2addr_b64 v[83:86], v80 offset0:192 offset1:248
	s_wait_dscnt 0x0
	v_mul_f32_e32 v73, v146, v86
	v_mul_f32_e32 v74, v146, v85
	s_delay_alu instid0(VALU_DEP_2) | instskip(NEXT) | instid1(VALU_DEP_2)
	v_fmac_f32_e32 v73, v145, v85
	v_fma_f32 v74, v145, v86, -v74
	ds_load_2addr_b64 v[85:88], v163 offset1:56
	ds_load_2addr_b64 v[89:92], v163 offset0:112 offset1:168
	ds_load_2addr_b64 v[93:96], v72 offset0:96 offset1:152
	;; [unrolled: 1-line block ×3, first 2 shown]
	global_wb scope:SCOPE_SE
	s_wait_dscnt 0x0
	s_barrier_signal -1
	s_barrier_wait -1
	global_inv scope:SCOPE_SE
	v_dual_sub_f32 v73, v85, v73 :: v_dual_sub_f32 v74, v86, v74
	s_delay_alu instid0(VALU_DEP_1) | instskip(NEXT) | instid1(VALU_DEP_2)
	v_fma_f32 v85, v85, 2.0, -v73
	v_fma_f32 v86, v86, 2.0, -v74
	ds_store_2addr_b64 v191, v[85:86], v[73:74] offset1:2
	v_dual_sub_f32 v73, v87, v75 :: v_dual_sub_f32 v74, v88, v101
	s_delay_alu instid0(VALU_DEP_1) | instskip(NEXT) | instid1(VALU_DEP_2)
	v_fma_f32 v85, v87, 2.0, -v73
	v_fma_f32 v86, v88, 2.0, -v74
	ds_store_2addr_b64 v192, v[85:86], v[73:74] offset1:2
	;; [unrolled: 5-line block ×9, first 2 shown]
	global_wb scope:SCOPE_SE
	s_wait_dscnt 0x0
	s_barrier_signal -1
	s_barrier_wait -1
	global_inv scope:SCOPE_SE
	ds_load_2addr_b64 v[83:86], v78 offset0:48 offset1:104
	s_wait_dscnt 0x0
	v_mul_f32_e32 v73, v150, v83
	v_mul_f32_e32 v75, v150, v84
	;; [unrolled: 1-line block ×3, first 2 shown]
	s_delay_alu instid0(VALU_DEP_3) | instskip(SKIP_1) | instid1(VALU_DEP_4)
	v_fma_f32 v101, v149, v84, -v73
	v_mul_f32_e32 v73, v150, v85
	v_fmac_f32_e32 v75, v149, v83
	s_delay_alu instid0(VALU_DEP_4) | instskip(NEXT) | instid1(VALU_DEP_3)
	v_fmac_f32_e32 v102, v149, v85
	v_fma_f32 v103, v149, v86, -v73
	ds_load_2addr_b64 v[83:86], v78 offset0:160 offset1:216
	s_wait_dscnt 0x0
	v_mul_f32_e32 v73, v150, v83
	v_mul_f32_e32 v104, v150, v84
	;; [unrolled: 1-line block ×3, first 2 shown]
	s_delay_alu instid0(VALU_DEP_3) | instskip(NEXT) | instid1(VALU_DEP_3)
	v_fma_f32 v105, v149, v84, -v73
	v_dual_mul_f32 v73, v150, v85 :: v_dual_fmac_f32 v104, v149, v83
	s_delay_alu instid0(VALU_DEP_3) | instskip(NEXT) | instid1(VALU_DEP_2)
	v_fmac_f32_e32 v106, v149, v85
	v_fma_f32 v107, v149, v86, -v73
	ds_load_2addr_b64 v[83:86], v79 offset0:16 offset1:72
	s_wait_dscnt 0x0
	v_mul_f32_e32 v73, v150, v83
	v_mul_f32_e32 v145, v150, v84
	;; [unrolled: 1-line block ×3, first 2 shown]
	s_delay_alu instid0(VALU_DEP_3) | instskip(SKIP_1) | instid1(VALU_DEP_4)
	v_fma_f32 v146, v149, v84, -v73
	v_mul_f32_e32 v73, v150, v85
	v_fmac_f32_e32 v145, v149, v83
	s_delay_alu instid0(VALU_DEP_4) | instskip(NEXT) | instid1(VALU_DEP_3)
	v_fmac_f32_e32 v157, v149, v85
	v_fma_f32 v158, v149, v86, -v73
	ds_load_2addr_b64 v[83:86], v79 offset0:128 offset1:184
	s_wait_dscnt 0x0
	v_mul_f32_e32 v73, v150, v83
	v_mul_f32_e32 v159, v150, v84
	;; [unrolled: 1-line block ×3, first 2 shown]
	s_delay_alu instid0(VALU_DEP_3) | instskip(SKIP_1) | instid1(VALU_DEP_4)
	v_fma_f32 v160, v149, v84, -v73
	v_mul_f32_e32 v73, v150, v85
	v_fmac_f32_e32 v159, v149, v83
	s_delay_alu instid0(VALU_DEP_4) | instskip(NEXT) | instid1(VALU_DEP_3)
	v_fmac_f32_e32 v165, v149, v85
	v_fma_f32 v167, v149, v86, -v73
	ds_load_2addr_b64 v[83:86], v80 offset0:192 offset1:248
	s_wait_dscnt 0x0
	v_mul_f32_e32 v73, v150, v86
	v_mul_f32_e32 v74, v150, v85
	s_delay_alu instid0(VALU_DEP_2) | instskip(NEXT) | instid1(VALU_DEP_2)
	v_fmac_f32_e32 v73, v149, v85
	v_fma_f32 v74, v149, v86, -v74
	ds_load_2addr_b64 v[85:88], v163 offset1:56
	ds_load_2addr_b64 v[89:92], v163 offset0:112 offset1:168
	ds_load_2addr_b64 v[93:96], v72 offset0:96 offset1:152
	;; [unrolled: 1-line block ×3, first 2 shown]
	global_wb scope:SCOPE_SE
	s_wait_dscnt 0x0
	s_barrier_signal -1
	s_barrier_wait -1
	global_inv scope:SCOPE_SE
	v_dual_sub_f32 v73, v85, v73 :: v_dual_sub_f32 v74, v86, v74
	s_delay_alu instid0(VALU_DEP_1) | instskip(NEXT) | instid1(VALU_DEP_2)
	v_fma_f32 v85, v85, 2.0, -v73
	v_fma_f32 v86, v86, 2.0, -v74
	ds_store_2addr_b64 v188, v[85:86], v[73:74] offset1:4
	v_dual_sub_f32 v73, v87, v75 :: v_dual_sub_f32 v74, v88, v101
	s_delay_alu instid0(VALU_DEP_1) | instskip(NEXT) | instid1(VALU_DEP_2)
	v_fma_f32 v85, v87, 2.0, -v73
	v_fma_f32 v86, v88, 2.0, -v74
	ds_store_2addr_b64 v189, v[85:86], v[73:74] offset1:4
	;; [unrolled: 5-line block ×9, first 2 shown]
	global_wb scope:SCOPE_SE
	s_wait_dscnt 0x0
	s_barrier_signal -1
	s_barrier_wait -1
	global_inv scope:SCOPE_SE
	ds_load_2addr_b64 v[83:86], v78 offset0:48 offset1:104
	s_wait_dscnt 0x0
	v_mul_f32_e32 v73, v148, v83
	v_mul_f32_e32 v75, v148, v84
	;; [unrolled: 1-line block ×3, first 2 shown]
	s_delay_alu instid0(VALU_DEP_3) | instskip(SKIP_1) | instid1(VALU_DEP_4)
	v_fma_f32 v101, v147, v84, -v73
	v_mul_f32_e32 v73, v148, v85
	v_fmac_f32_e32 v75, v147, v83
	s_delay_alu instid0(VALU_DEP_4) | instskip(NEXT) | instid1(VALU_DEP_3)
	v_fmac_f32_e32 v102, v147, v85
	v_fma_f32 v103, v147, v86, -v73
	ds_load_2addr_b64 v[83:86], v78 offset0:160 offset1:216
	s_wait_dscnt 0x0
	v_mul_f32_e32 v73, v148, v83
	v_mul_f32_e32 v104, v148, v84
	;; [unrolled: 1-line block ×3, first 2 shown]
	s_delay_alu instid0(VALU_DEP_3) | instskip(NEXT) | instid1(VALU_DEP_3)
	v_fma_f32 v105, v147, v84, -v73
	v_dual_mul_f32 v73, v148, v85 :: v_dual_fmac_f32 v104, v147, v83
	s_delay_alu instid0(VALU_DEP_3) | instskip(NEXT) | instid1(VALU_DEP_2)
	v_fmac_f32_e32 v106, v147, v85
	v_fma_f32 v107, v147, v86, -v73
	ds_load_2addr_b64 v[83:86], v79 offset0:16 offset1:72
	s_wait_dscnt 0x0
	v_mul_f32_e32 v73, v148, v83
	v_mul_f32_e32 v145, v148, v84
	v_mul_f32_e32 v149, v148, v86
	s_delay_alu instid0(VALU_DEP_3) | instskip(SKIP_1) | instid1(VALU_DEP_4)
	v_fma_f32 v146, v147, v84, -v73
	v_mul_f32_e32 v73, v148, v85
	v_fmac_f32_e32 v145, v147, v83
	s_delay_alu instid0(VALU_DEP_4) | instskip(NEXT) | instid1(VALU_DEP_3)
	v_fmac_f32_e32 v149, v147, v85
	v_fma_f32 v150, v147, v86, -v73
	ds_load_2addr_b64 v[83:86], v79 offset0:128 offset1:184
	s_wait_dscnt 0x0
	v_mul_f32_e32 v73, v148, v83
	v_mul_f32_e32 v157, v148, v84
	;; [unrolled: 1-line block ×3, first 2 shown]
	s_delay_alu instid0(VALU_DEP_3) | instskip(SKIP_1) | instid1(VALU_DEP_4)
	v_fma_f32 v158, v147, v84, -v73
	v_mul_f32_e32 v73, v148, v85
	v_fmac_f32_e32 v157, v147, v83
	s_delay_alu instid0(VALU_DEP_4) | instskip(NEXT) | instid1(VALU_DEP_3)
	v_fmac_f32_e32 v159, v147, v85
	v_fma_f32 v160, v147, v86, -v73
	ds_load_2addr_b64 v[83:86], v80 offset0:192 offset1:248
	s_wait_dscnt 0x0
	v_mul_f32_e32 v73, v148, v86
	v_mul_f32_e32 v74, v148, v85
	s_delay_alu instid0(VALU_DEP_2) | instskip(NEXT) | instid1(VALU_DEP_2)
	v_fmac_f32_e32 v73, v147, v85
	v_fma_f32 v74, v147, v86, -v74
	ds_load_2addr_b64 v[85:88], v163 offset1:56
	ds_load_2addr_b64 v[89:92], v163 offset0:112 offset1:168
	ds_load_2addr_b64 v[93:96], v72 offset0:96 offset1:152
	;; [unrolled: 1-line block ×3, first 2 shown]
	global_wb scope:SCOPE_SE
	s_wait_dscnt 0x0
	s_barrier_signal -1
	s_barrier_wait -1
	global_inv scope:SCOPE_SE
	v_dual_sub_f32 v73, v85, v73 :: v_dual_sub_f32 v74, v86, v74
	s_delay_alu instid0(VALU_DEP_1) | instskip(NEXT) | instid1(VALU_DEP_2)
	v_fma_f32 v85, v85, 2.0, -v73
	v_fma_f32 v86, v86, 2.0, -v74
	ds_store_2addr_b64 v196, v[85:86], v[73:74] offset1:8
	v_dual_sub_f32 v73, v87, v75 :: v_dual_sub_f32 v74, v88, v101
	s_delay_alu instid0(VALU_DEP_1) | instskip(NEXT) | instid1(VALU_DEP_2)
	v_fma_f32 v85, v87, 2.0, -v73
	v_fma_f32 v86, v88, 2.0, -v74
	ds_store_2addr_b64 v197, v[85:86], v[73:74] offset1:8
	;; [unrolled: 5-line block ×9, first 2 shown]
	global_wb scope:SCOPE_SE
	s_wait_dscnt 0x0
	s_barrier_signal -1
	s_barrier_wait -1
	global_inv scope:SCOPE_SE
	ds_load_2addr_b64 v[83:86], v78 offset0:160 offset1:216
	s_wait_dscnt 0x0
	v_mul_f32_e32 v75, v3, v84
	v_mul_f32_e32 v73, v3, v83
	;; [unrolled: 1-line block ×4, first 2 shown]
	s_delay_alu instid0(VALU_DEP_4) | instskip(NEXT) | instid1(VALU_DEP_4)
	v_fmac_f32_e32 v75, v2, v83
	v_fma_f32 v73, v2, v84, -v73
	s_delay_alu instid0(VALU_DEP_4) | instskip(NEXT) | instid1(VALU_DEP_4)
	v_fmac_f32_e32 v89, v156, v85
	v_fma_f32 v90, v156, v86, -v74
	ds_load_2addr_b64 v[83:86], v80 offset0:192 offset1:248
	s_wait_dscnt 0x0
	v_mul_f32_e32 v91, v1, v84
	v_mul_f32_e32 v74, v1, v83
	;; [unrolled: 1-line block ×4, first 2 shown]
	s_delay_alu instid0(VALU_DEP_4) | instskip(NEXT) | instid1(VALU_DEP_4)
	v_fmac_f32_e32 v91, v0, v83
	v_fma_f32 v92, v0, v84, -v74
	s_delay_alu instid0(VALU_DEP_4) | instskip(NEXT) | instid1(VALU_DEP_4)
	v_fmac_f32_e32 v93, v4, v85
	v_fma_f32 v94, v4, v86, -v5
	ds_load_2addr_b64 v[83:86], v79 offset0:16 offset1:72
	s_wait_dscnt 0x0
	v_mul_f32_e32 v4, v7, v85
	v_mul_f32_e32 v95, v7, v86
	;; [unrolled: 1-line block ×3, first 2 shown]
	s_delay_alu instid0(VALU_DEP_3) | instskip(NEXT) | instid1(VALU_DEP_3)
	v_fma_f32 v96, v6, v86, -v4
	v_dual_mul_f32 v4, v3, v83 :: v_dual_fmac_f32 v95, v6, v85
	s_delay_alu instid0(VALU_DEP_3) | instskip(NEXT) | instid1(VALU_DEP_2)
	v_fmac_f32_e32 v97, v2, v83
	v_fma_f32 v98, v2, v84, -v4
	ds_load_2addr_b64 v[4:7], v79 offset0:128 offset1:184
	ds_load_2addr_b64 v[83:86], v78 offset0:48 offset1:104
	s_wait_dscnt 0x1
	v_mul_f32_e32 v101, v3, v5
	v_mul_f32_e32 v3, v3, v4
	;; [unrolled: 1-line block ×3, first 2 shown]
	s_wait_dscnt 0x0
	v_dual_mul_f32 v74, v184, v6 :: v_dual_mul_f32 v103, v1, v84
	v_fmac_f32_e32 v101, v2, v4
	v_fma_f32 v102, v2, v5, -v3
	ds_load_2addr_b64 v[2:5], v80 offset0:80 offset1:136
	v_fmac_f32_e32 v99, v153, v6
	v_fma_f32 v100, v153, v7, -v74
	v_fmac_f32_e32 v103, v0, v83
	v_mul_f32_e32 v105, v155, v86
	s_wait_dscnt 0x0
	s_delay_alu instid0(VALU_DEP_1) | instskip(SKIP_1) | instid1(VALU_DEP_2)
	v_dual_fmac_f32 v105, v151, v85 :: v_dual_mul_f32 v6, v1, v3
	v_mul_f32_e32 v107, v152, v5
	v_fmac_f32_e32 v6, v0, v2
	v_mul_f32_e32 v2, v1, v2
	v_mul_f32_e32 v1, v1, v83
	s_delay_alu instid0(VALU_DEP_4) | instskip(NEXT) | instid1(VALU_DEP_3)
	v_fmac_f32_e32 v107, v171, v4
	v_fma_f32 v7, v0, v3, -v2
	s_delay_alu instid0(VALU_DEP_3) | instskip(SKIP_1) | instid1(VALU_DEP_3)
	v_fma_f32 v104, v0, v84, -v1
	v_mul_f32_e32 v0, v155, v85
	v_sub_f32_e32 v146, v7, v73
	s_delay_alu instid0(VALU_DEP_2) | instskip(SKIP_1) | instid1(VALU_DEP_1)
	v_fma_f32 v106, v151, v86, -v0
	v_mul_f32_e32 v0, v152, v4
	v_fma_f32 v145, v171, v5, -v0
	ds_load_2addr_b64 v[0:3], v163 offset1:56
	s_wait_dscnt 0x0
	v_dual_add_f32 v5, v7, v73 :: v_dual_add_f32 v4, v1, v7
	s_delay_alu instid0(VALU_DEP_1) | instskip(NEXT) | instid1(VALU_DEP_2)
	v_fma_f32 v1, -0.5, v5, v1
	v_add_f32_e32 v74, v4, v73
	v_add_f32_e32 v4, v0, v6
	s_delay_alu instid0(VALU_DEP_1) | instskip(SKIP_2) | instid1(VALU_DEP_2)
	v_add_f32_e32 v73, v4, v75
	v_add_f32_e32 v4, v6, v75
	v_sub_f32_e32 v75, v6, v75
	v_fma_f32 v0, -0.5, v4, v0
	s_delay_alu instid0(VALU_DEP_2)
	v_fmamk_f32 v88, v75, 0x3f5db3d7, v1
	v_fmac_f32_e32 v1, 0xbf5db3d7, v75
	ds_load_2addr_b64 v[4:7], v163 offset0:112 offset1:168
	ds_load_2addr_b64 v[83:86], v72 offset0:96 offset1:152
	global_wb scope:SCOPE_SE
	s_wait_dscnt 0x0
	v_fmamk_f32 v87, v146, 0xbf5db3d7, v0
	v_fmac_f32_e32 v0, 0x3f5db3d7, v146
	s_barrier_signal -1
	s_barrier_wait -1
	global_inv scope:SCOPE_SE
	ds_store_2addr_b64 v206, v[73:74], v[87:88] offset1:16
	ds_store_b64 v206, v[0:1] offset:256
	v_add_f32_e32 v0, v107, v89
	v_dual_add_f32 v74, v145, v90 :: v_dual_add_f32 v73, v2, v107
	v_sub_f32_e32 v75, v145, v90
	v_sub_f32_e32 v87, v107, v89
	s_delay_alu instid0(VALU_DEP_4) | instskip(NEXT) | instid1(VALU_DEP_4)
	v_fma_f32 v2, -0.5, v0, v2
	v_dual_add_f32 v0, v3, v145 :: v_dual_fmac_f32 v3, -0.5, v74
	s_delay_alu instid0(VALU_DEP_1) | instskip(NEXT) | instid1(VALU_DEP_3)
	v_dual_add_f32 v1, v0, v90 :: v_dual_add_f32 v0, v73, v89
	v_fmamk_f32 v73, v75, 0xbf5db3d7, v2
	s_delay_alu instid0(VALU_DEP_3)
	v_fmamk_f32 v74, v87, 0x3f5db3d7, v3
	v_fmac_f32_e32 v2, 0x3f5db3d7, v75
	v_fmac_f32_e32 v3, 0xbf5db3d7, v87
	ds_store_2addr_b64 v205, v[0:1], v[73:74] offset1:16
	v_add_f32_e32 v0, v5, v92
	ds_store_b64 v205, v[2:3] offset:256
	v_dual_add_f32 v3, v92, v98 :: v_dual_add_f32 v2, v91, v97
	v_sub_f32_e32 v73, v92, v98
	v_add_f32_e32 v1, v0, v98
	v_add_f32_e32 v0, v4, v91
	s_delay_alu instid0(VALU_DEP_4) | instskip(SKIP_2) | instid1(VALU_DEP_4)
	v_fma_f32 v3, -0.5, v3, v5
	v_fma_f32 v2, -0.5, v2, v4
	v_sub_f32_e32 v74, v91, v97
	v_add_f32_e32 v0, v0, v97
	s_delay_alu instid0(VALU_DEP_3) | instskip(NEXT) | instid1(VALU_DEP_3)
	v_fmamk_f32 v4, v73, 0xbf5db3d7, v2
	v_dual_fmamk_f32 v5, v74, 0x3f5db3d7, v3 :: v_dual_fmac_f32 v2, 0x3f5db3d7, v73
	v_fmac_f32_e32 v3, 0xbf5db3d7, v74
	ds_store_2addr_b64 v204, v[0:1], v[4:5] offset1:16
	v_add_f32_e32 v0, v93, v95
	ds_store_b64 v204, v[2:3] offset:256
	v_add_f32_e32 v3, v94, v96
	v_add_f32_e32 v2, v6, v93
	v_sub_f32_e32 v4, v94, v96
	v_fma_f32 v6, -0.5, v0, v6
	s_delay_alu instid0(VALU_DEP_4) | instskip(SKIP_1) | instid1(VALU_DEP_2)
	v_dual_add_f32 v0, v7, v94 :: v_dual_fmac_f32 v7, -0.5, v3
	v_sub_f32_e32 v5, v93, v95
	v_dual_add_f32 v1, v0, v96 :: v_dual_add_f32 v0, v2, v95
	s_delay_alu instid0(VALU_DEP_4) | instskip(NEXT) | instid1(VALU_DEP_3)
	v_fmamk_f32 v2, v4, 0xbf5db3d7, v6
	v_dual_fmamk_f32 v3, v5, 0x3f5db3d7, v7 :: v_dual_fmac_f32 v6, 0x3f5db3d7, v4
	v_fmac_f32_e32 v7, 0xbf5db3d7, v5
	ds_store_2addr_b64 v203, v[0:1], v[2:3] offset1:16
	v_add_f32_e32 v0, v84, v104
	v_dual_add_f32 v3, v104, v102 :: v_dual_add_f32 v2, v103, v101
	ds_store_b64 v203, v[6:7] offset:256
	v_sub_f32_e32 v6, v104, v102
	v_dual_add_f32 v1, v0, v102 :: v_dual_add_f32 v0, v83, v103
	v_fma_f32 v2, -0.5, v2, v83
	v_fma_f32 v3, -0.5, v3, v84
	v_sub_f32_e32 v7, v103, v101
	s_delay_alu instid0(VALU_DEP_4) | instskip(NEXT) | instid1(VALU_DEP_4)
	v_add_f32_e32 v0, v0, v101
	v_fmamk_f32 v4, v6, 0xbf5db3d7, v2
	s_delay_alu instid0(VALU_DEP_3)
	v_dual_fmac_f32 v2, 0x3f5db3d7, v6 :: v_dual_fmamk_f32 v5, v7, 0x3f5db3d7, v3
	v_fmac_f32_e32 v3, 0xbf5db3d7, v7
	ds_store_2addr_b64 v202, v[0:1], v[4:5] offset1:16
	v_add_f32_e32 v0, v105, v99
	ds_store_b64 v202, v[2:3] offset:256
	v_dual_add_f32 v2, v85, v105 :: v_dual_add_f32 v1, v86, v106
	v_sub_f32_e32 v4, v106, v100
	v_fma_f32 v85, -0.5, v0, v85
	v_dual_add_f32 v0, v106, v100 :: v_dual_sub_f32 v5, v105, v99
	s_delay_alu instid0(VALU_DEP_4) | instskip(NEXT) | instid1(VALU_DEP_2)
	v_add_f32_e32 v1, v1, v100
	v_fmac_f32_e32 v86, -0.5, v0
	v_add_f32_e32 v0, v2, v99
	v_fmamk_f32 v2, v4, 0xbf5db3d7, v85
	v_fmac_f32_e32 v85, 0x3f5db3d7, v4
	s_delay_alu instid0(VALU_DEP_4)
	v_fmamk_f32 v3, v5, 0x3f5db3d7, v86
	v_fmac_f32_e32 v86, 0xbf5db3d7, v5
	ds_store_2addr_b64 v199, v[0:1], v[2:3] offset1:16
	ds_store_b64 v199, v[85:86] offset:256
	global_wb scope:SCOPE_SE
	s_wait_dscnt 0x0
	s_barrier_signal -1
	s_barrier_wait -1
	global_inv scope:SCOPE_SE
	ds_load_2addr_b64 v[0:3], v80 offset0:80 offset1:136
	s_wait_dscnt 0x0
	v_mul_f32_e32 v73, v41, v1
	v_mul_f32_e32 v4, v41, v0
	s_delay_alu instid0(VALU_DEP_2) | instskip(NEXT) | instid1(VALU_DEP_2)
	v_fmac_f32_e32 v73, v40, v0
	v_fma_f32 v40, v40, v1, -v4
	ds_load_2addr_b64 v[4:7], v78 offset0:160 offset1:216
	s_wait_dscnt 0x0
	v_mul_f32_e32 v41, v43, v5
	v_dual_mul_f32 v0, v43, v4 :: v_dual_mul_f32 v43, v37, v3
	s_delay_alu instid0(VALU_DEP_2) | instskip(NEXT) | instid1(VALU_DEP_2)
	v_fmac_f32_e32 v41, v42, v4
	v_fma_f32 v42, v42, v5, -v0
	v_mul_f32_e32 v0, v37, v2
	s_delay_alu instid0(VALU_DEP_4) | instskip(SKIP_1) | instid1(VALU_DEP_3)
	v_fmac_f32_e32 v43, v36, v2
	v_mul_f32_e32 v37, v39, v7
	v_fma_f32 v36, v36, v3, -v0
	v_mul_f32_e32 v0, v39, v6
	s_delay_alu instid0(VALU_DEP_3) | instskip(NEXT) | instid1(VALU_DEP_2)
	v_fmac_f32_e32 v37, v38, v6
	v_fma_f32 v38, v38, v7, -v0
	ds_load_2addr_b64 v[0:3], v80 offset0:192 offset1:248
	s_wait_dscnt 0x0
	v_mul_f32_e32 v39, v33, v1
	v_mul_f32_e32 v4, v33, v0
	s_delay_alu instid0(VALU_DEP_2) | instskip(NEXT) | instid1(VALU_DEP_2)
	v_fmac_f32_e32 v39, v32, v0
	v_fma_f32 v32, v32, v1, -v4
	ds_load_2addr_b64 v[4:7], v79 offset0:16 offset1:72
	s_wait_dscnt 0x0
	v_mul_f32_e32 v33, v35, v5
	v_dual_mul_f32 v0, v35, v4 :: v_dual_mul_f32 v35, v29, v3
	s_delay_alu instid0(VALU_DEP_2) | instskip(NEXT) | instid1(VALU_DEP_2)
	v_dual_mul_f32 v74, v31, v7 :: v_dual_fmac_f32 v33, v34, v4
	v_fma_f32 v34, v34, v5, -v0
	v_mul_f32_e32 v0, v29, v2
	s_delay_alu instid0(VALU_DEP_4) | instskip(NEXT) | instid1(VALU_DEP_4)
	v_fmac_f32_e32 v35, v28, v2
	v_fmac_f32_e32 v74, v30, v6
	s_delay_alu instid0(VALU_DEP_3) | instskip(SKIP_1) | instid1(VALU_DEP_1)
	v_fma_f32 v28, v28, v3, -v0
	v_dual_mul_f32 v0, v31, v6 :: v_dual_sub_f32 v31, v73, v41
	v_fma_f32 v29, v30, v7, -v0
	ds_load_2addr_b64 v[0:3], v78 offset0:48 offset1:104
	v_sub_f32_e32 v30, v40, v42
	s_wait_dscnt 0x0
	v_mul_f32_e32 v4, v25, v0
	v_mul_f32_e32 v75, v25, v1
	;; [unrolled: 1-line block ×3, first 2 shown]
	s_delay_alu instid0(VALU_DEP_3)
	v_fma_f32 v83, v24, v1, -v4
	ds_load_2addr_b64 v[4:7], v79 offset0:128 offset1:184
	v_fmac_f32_e32 v75, v24, v0
	v_fmac_f32_e32 v86, v20, v2
	s_wait_dscnt 0x0
	v_dual_add_f32 v1, v40, v42 :: v_dual_mul_f32 v0, v27, v4
	v_mul_f32_e32 v84, v27, v5
	v_mul_f32_e32 v88, v23, v7
	s_delay_alu instid0(VALU_DEP_3) | instskip(SKIP_1) | instid1(VALU_DEP_4)
	v_fma_f32 v85, v26, v5, -v0
	v_mul_f32_e32 v0, v21, v2
	v_fmac_f32_e32 v84, v26, v4
	s_delay_alu instid0(VALU_DEP_4) | instskip(NEXT) | instid1(VALU_DEP_3)
	v_fmac_f32_e32 v88, v22, v6
	v_fma_f32 v87, v20, v3, -v0
	ds_load_2addr_b64 v[2:5], v163 offset1:56
	v_mul_f32_e32 v0, v23, v6
	s_delay_alu instid0(VALU_DEP_1) | instskip(SKIP_3) | instid1(VALU_DEP_2)
	v_fma_f32 v89, v22, v7, -v0
	s_wait_dscnt 0x0
	v_add_f32_e32 v0, v3, v40
	v_fma_f32 v25, -0.5, v1, v3
	v_dual_add_f32 v7, v0, v42 :: v_dual_add_f32 v0, v2, v73
	s_delay_alu instid0(VALU_DEP_2) | instskip(NEXT) | instid1(VALU_DEP_2)
	v_fmamk_f32 v27, v31, 0x3f5db3d7, v25
	v_dual_fmac_f32 v25, 0xbf5db3d7, v31 :: v_dual_add_f32 v6, v0, v41
	v_add_f32_e32 v0, v73, v41
	s_delay_alu instid0(VALU_DEP_1)
	v_fma_f32 v24, -0.5, v0, v2
	ds_load_2addr_b64 v[0:3], v72 offset0:96 offset1:152
	ds_load_2addr_b64 v[20:23], v163 offset0:112 offset1:168
	global_wb scope:SCOPE_SE
	s_wait_dscnt 0x0
	s_barrier_signal -1
	s_barrier_wait -1
	v_fmamk_f32 v26, v30, 0xbf5db3d7, v24
	v_fmac_f32_e32 v24, 0x3f5db3d7, v30
	global_inv scope:SCOPE_SE
	ds_store_2addr_b64 v212, v[6:7], v[26:27] offset1:48
	ds_store_b64 v212, v[24:25] offset:768
	v_dual_add_f32 v6, v43, v37 :: v_dual_add_f32 v25, v36, v38
	v_add_f32_e32 v24, v4, v43
	v_dual_sub_f32 v26, v36, v38 :: v_dual_sub_f32 v27, v43, v37
	s_delay_alu instid0(VALU_DEP_3) | instskip(NEXT) | instid1(VALU_DEP_4)
	v_fma_f32 v4, -0.5, v6, v4
	v_dual_add_f32 v6, v5, v36 :: v_dual_fmac_f32 v5, -0.5, v25
	s_delay_alu instid0(VALU_DEP_1) | instskip(SKIP_1) | instid1(VALU_DEP_4)
	v_dual_sub_f32 v36, v87, v89 :: v_dual_add_f32 v7, v6, v38
	v_add_f32_e32 v6, v24, v37
	v_fmamk_f32 v24, v26, 0xbf5db3d7, v4
	s_delay_alu instid0(VALU_DEP_4)
	v_dual_fmamk_f32 v25, v27, 0x3f5db3d7, v5 :: v_dual_fmac_f32 v4, 0x3f5db3d7, v26
	v_fmac_f32_e32 v5, 0xbf5db3d7, v27
	ds_store_2addr_b64 v211, v[6:7], v[24:25] offset1:48
	ds_store_b64 v211, v[4:5] offset:768
	v_dual_add_f32 v4, v39, v33 :: v_dual_add_f32 v5, v21, v32
	v_add_f32_e32 v6, v20, v39
	v_add_f32_e32 v7, v32, v34
	v_sub_f32_e32 v27, v32, v34
	s_delay_alu instid0(VALU_DEP_4)
	v_fma_f32 v20, -0.5, v4, v20
	v_add_f32_e32 v25, v5, v34
	v_dual_add_f32 v5, v35, v74 :: v_dual_add_f32 v24, v6, v33
	v_fma_f32 v21, -0.5, v7, v21
	v_sub_f32_e32 v4, v39, v33
	v_fmamk_f32 v26, v27, 0xbf5db3d7, v20
	v_fmac_f32_e32 v20, 0x3f5db3d7, v27
	v_dual_add_f32 v6, v23, v28 :: v_dual_add_f32 v7, v22, v35
	v_add_f32_e32 v27, v28, v29
	v_fma_f32 v22, -0.5, v5, v22
	v_sub_f32_e32 v5, v28, v29
	s_delay_alu instid0(VALU_DEP_4) | instskip(NEXT) | instid1(VALU_DEP_4)
	v_dual_add_f32 v29, v6, v29 :: v_dual_sub_f32 v6, v35, v74
	v_fmac_f32_e32 v23, -0.5, v27
	v_fmamk_f32 v27, v4, 0x3f5db3d7, v21
	s_delay_alu instid0(VALU_DEP_4) | instskip(SKIP_4) | instid1(VALU_DEP_3)
	v_dual_fmac_f32 v21, 0xbf5db3d7, v4 :: v_dual_fmamk_f32 v30, v5, 0xbf5db3d7, v22
	v_fmac_f32_e32 v22, 0x3f5db3d7, v5
	v_dual_add_f32 v4, v1, v83 :: v_dual_add_f32 v5, v75, v84
	v_fmamk_f32 v31, v6, 0x3f5db3d7, v23
	v_dual_fmac_f32 v23, 0xbf5db3d7, v6 :: v_dual_add_f32 v6, v0, v75
	v_add_f32_e32 v33, v4, v85
	s_delay_alu instid0(VALU_DEP_4) | instskip(SKIP_4) | instid1(VALU_DEP_4)
	v_fma_f32 v4, -0.5, v5, v0
	v_add_f32_e32 v0, v86, v88
	v_add_f32_e32 v28, v7, v74
	v_dual_add_f32 v7, v83, v85 :: v_dual_add_f32 v32, v6, v84
	v_add_f32_e32 v6, v2, v86
	v_fma_f32 v2, -0.5, v0, v2
	v_add_f32_e32 v0, v3, v87
	s_delay_alu instid0(VALU_DEP_4)
	v_fma_f32 v5, -0.5, v7, v1
	v_sub_f32_e32 v35, v83, v85
	v_sub_f32_e32 v1, v75, v84
	;; [unrolled: 1-line block ×3, first 2 shown]
	v_add_f32_e32 v7, v0, v89
	v_add_f32_e32 v0, v87, v89
	v_fmamk_f32 v34, v35, 0xbf5db3d7, v4
	v_dual_fmac_f32 v4, 0x3f5db3d7, v35 :: v_dual_fmamk_f32 v35, v1, 0x3f5db3d7, v5
	v_add_f32_e32 v6, v6, v88
	s_delay_alu instid0(VALU_DEP_4) | instskip(SKIP_1) | instid1(VALU_DEP_2)
	v_dual_fmac_f32 v3, -0.5, v0 :: v_dual_fmamk_f32 v0, v36, 0xbf5db3d7, v2
	v_fmac_f32_e32 v5, 0xbf5db3d7, v1
	v_dual_fmac_f32 v2, 0x3f5db3d7, v36 :: v_dual_fmamk_f32 v1, v37, 0x3f5db3d7, v3
	v_fmac_f32_e32 v3, 0xbf5db3d7, v37
	ds_store_2addr_b64 v210, v[24:25], v[26:27] offset1:48
	ds_store_b64 v210, v[20:21] offset:768
	ds_store_2addr_b64 v209, v[28:29], v[30:31] offset1:48
	ds_store_b64 v209, v[22:23] offset:768
	ds_store_2addr_b64 v208, v[32:33], v[34:35] offset1:48
	ds_store_b64 v208, v[4:5] offset:768
	ds_store_2addr_b64 v207, v[6:7], v[0:1] offset1:48
	ds_store_b64 v207, v[2:3] offset:768
	global_wb scope:SCOPE_SE
	s_wait_dscnt 0x0
	s_barrier_signal -1
	s_barrier_wait -1
	global_inv scope:SCOPE_SE
	ds_load_2addr_b64 v[20:23], v163 offset1:56
	ds_load_2addr_b64 v[72:75], v163 offset0:144 offset1:200
	ds_load_2addr_b64 v[36:39], v80 offset0:32 offset1:88
	;; [unrolled: 1-line block ×6, first 2 shown]
	s_and_saveexec_b32 s0, vcc_lo
	s_cbranch_execz .LBB0_7
; %bb.6:
	v_add_nc_u32_e32 v4, 0x200, v163
	ds_load_2addr_b64 v[0:3], v82 offset0:16 offset1:160
	ds_load_2addr_b64 v[68:71], v81 offset0:48 offset1:192
	;; [unrolled: 1-line block ×3, first 2 shown]
	ds_load_b64 v[76:77], v163 offset:7808
.LBB0_7:
	s_wait_alu 0xfffe
	s_or_b32 exec_lo, exec_lo, s0
	s_wait_dscnt 0x5
	v_mul_f32_e32 v78, v65, v73
	v_mul_f32_e32 v65, v65, v72
	s_wait_dscnt 0x4
	v_mul_f32_e32 v79, v67, v37
	v_mul_f32_e32 v67, v67, v36
	v_fmac_f32_e32 v78, v64, v72
	v_fma_f32 v64, v64, v73, -v65
	s_delay_alu instid0(VALU_DEP_4) | instskip(NEXT) | instid1(VALU_DEP_4)
	v_fmac_f32_e32 v79, v66, v36
	v_fma_f32 v36, v66, v37, -v67
	s_wait_dscnt 0x1
	v_mul_f32_e32 v66, v45, v29
	v_mul_f32_e32 v65, v59, v25
	;; [unrolled: 1-line block ×5, first 2 shown]
	v_fmac_f32_e32 v66, v44, v28
	v_fmac_f32_e32 v65, v58, v24
	v_fma_f32 v24, v58, v25, -v59
	s_wait_dscnt 0x0
	v_dual_mul_f32 v25, v45, v28 :: v_dual_mul_f32 v28, v47, v33
	v_fmac_f32_e32 v37, v56, v40
	v_mul_f32_e32 v45, v61, v75
	s_delay_alu instid0(VALU_DEP_3) | instskip(NEXT) | instid1(VALU_DEP_4)
	v_fma_f32 v25, v44, v29, -v25
	v_fmac_f32_e32 v28, v46, v32
	v_mul_f32_e32 v44, v63, v39
	v_fma_f32 v40, v56, v41, -v57
	v_mul_f32_e32 v41, v47, v32
	v_mul_f32_e32 v47, v61, v74
	;; [unrolled: 1-line block ×3, first 2 shown]
	v_fmac_f32_e32 v44, v62, v38
	s_delay_alu instid0(VALU_DEP_4) | instskip(NEXT) | instid1(VALU_DEP_4)
	v_fma_f32 v29, v46, v33, -v41
	v_fma_f32 v41, v60, v75, -v47
	v_mul_f32_e32 v46, v53, v43
	v_mul_f32_e32 v33, v53, v42
	;; [unrolled: 1-line block ×3, first 2 shown]
	v_fma_f32 v38, v62, v39, -v32
	v_mul_f32_e32 v32, v49, v30
	v_fmac_f32_e32 v46, v52, v42
	v_fma_f32 v39, v52, v43, -v33
	v_fmac_f32_e32 v47, v54, v26
	v_mul_f32_e32 v26, v55, v26
	v_mul_f32_e32 v42, v49, v31
	;; [unrolled: 1-line block ×3, first 2 shown]
	v_fmac_f32_e32 v45, v60, v74
	s_delay_alu instid0(VALU_DEP_4) | instskip(NEXT) | instid1(VALU_DEP_4)
	v_fma_f32 v49, v54, v27, -v26
	v_fmac_f32_e32 v42, v48, v30
	v_fma_f32 v48, v48, v31, -v32
	v_add_f32_e32 v26, v78, v28
	v_dual_sub_f32 v28, v78, v28 :: v_dual_add_f32 v27, v64, v29
	v_dual_add_f32 v30, v79, v66 :: v_dual_sub_f32 v29, v64, v29
	v_sub_f32_e32 v32, v79, v66
	v_mul_f32_e32 v33, v51, v34
	v_fmac_f32_e32 v43, v50, v34
	v_add_f32_e32 v31, v36, v25
	v_sub_f32_e32 v25, v36, v25
	v_add_f32_e32 v34, v40, v24
	v_sub_f32_e32 v24, v24, v40
	v_sub_f32_e32 v40, v30, v26
	s_delay_alu instid0(VALU_DEP_2) | instskip(SKIP_3) | instid1(VALU_DEP_1)
	v_dual_add_f32 v36, v30, v26 :: v_dual_add_f32 v53, v24, v25
	v_dual_sub_f32 v55, v24, v25 :: v_dual_sub_f32 v24, v29, v24
	v_fma_f32 v50, v50, v35, -v33
	v_sub_f32_e32 v35, v65, v37
	v_dual_add_f32 v33, v37, v65 :: v_dual_sub_f32 v54, v35, v32
	s_delay_alu instid0(VALU_DEP_1) | instskip(SKIP_3) | instid1(VALU_DEP_4)
	v_dual_add_f32 v37, v31, v27 :: v_dual_sub_f32 v26, v26, v33
	v_dual_sub_f32 v51, v31, v27 :: v_dual_sub_f32 v30, v33, v30
	v_sub_f32_e32 v27, v27, v34
	v_dual_add_f32 v52, v35, v32 :: v_dual_sub_f32 v31, v34, v31
	v_add_f32_e32 v34, v34, v37
	v_sub_f32_e32 v32, v32, v28
	v_sub_f32_e32 v35, v28, v35
	s_delay_alu instid0(VALU_DEP_4)
	v_add_f32_e32 v28, v52, v28
	v_mul_f32_e32 v52, 0x3f08b237, v54
	v_add_f32_e32 v21, v21, v34
	v_dual_add_f32 v33, v33, v36 :: v_dual_mul_f32 v26, 0x3f4a47b2, v26
	v_dual_mul_f32 v36, 0x3d64c772, v30 :: v_dual_sub_f32 v25, v25, v29
	v_dual_mul_f32 v54, 0xbf5ff5aa, v32 :: v_dual_add_f32 v29, v53, v29
	s_delay_alu instid0(VALU_DEP_3) | instskip(NEXT) | instid1(VALU_DEP_3)
	v_fmamk_f32 v30, v30, 0x3d64c772, v26
	v_fma_f32 v36, 0x3f3bfb3b, v40, -v36
	v_fma_f32 v26, 0xbf3bfb3b, v40, -v26
	v_fmamk_f32 v40, v35, 0xbeae86e6, v52
	v_fmamk_f32 v34, v34, 0xbf955555, v21
	v_dual_add_f32 v20, v20, v33 :: v_dual_mul_f32 v27, 0x3f4a47b2, v27
	v_fma_f32 v32, 0xbf5ff5aa, v32, -v52
	v_fma_f32 v35, 0x3eae86e6, v35, -v54
	s_delay_alu instid0(VALU_DEP_3)
	v_fmamk_f32 v33, v33, 0xbf955555, v20
	v_mul_f32_e32 v53, 0x3f08b237, v55
	v_mul_f32_e32 v37, 0x3d64c772, v31
	v_fmamk_f32 v31, v31, 0x3d64c772, v27
	v_fma_f32 v27, 0xbf3bfb3b, v51, -v27
	v_add_f32_e32 v54, v30, v33
	v_add_f32_e32 v30, v36, v33
	v_fma_f32 v52, 0xbf5ff5aa, v25, -v53
	v_mul_f32_e32 v55, 0xbf5ff5aa, v25
	v_fma_f32 v37, 0x3f3bfb3b, v51, -v37
	v_dual_fmac_f32 v35, 0xbee1c552, v28 :: v_dual_add_f32 v36, v45, v43
	s_delay_alu instid0(VALU_DEP_4) | instskip(SKIP_4) | instid1(VALU_DEP_4)
	v_fmac_f32_e32 v52, 0xbee1c552, v29
	v_fmamk_f32 v51, v24, 0xbeae86e6, v53
	v_fma_f32 v53, 0x3eae86e6, v24, -v55
	v_fmac_f32_e32 v40, 0xbee1c552, v28
	v_fmac_f32_e32 v32, 0xbee1c552, v28
	v_dual_sub_f32 v28, v30, v52 :: v_dual_fmac_f32 v51, 0xbee1c552, v29
	s_delay_alu instid0(VALU_DEP_4) | instskip(NEXT) | instid1(VALU_DEP_2)
	v_dual_fmac_f32 v53, 0xbee1c552, v29 :: v_dual_add_f32 v30, v52, v30
	v_dual_add_f32 v24, v51, v54 :: v_dual_add_f32 v33, v26, v33
	s_delay_alu instid0(VALU_DEP_1) | instskip(SKIP_1) | instid1(VALU_DEP_1)
	v_dual_add_f32 v26, v53, v33 :: v_dual_add_f32 v55, v31, v34
	v_add_f32_e32 v31, v37, v34
	v_dual_add_f32 v34, v27, v34 :: v_dual_add_f32 v29, v32, v31
	s_delay_alu instid0(VALU_DEP_1)
	v_sub_f32_e32 v27, v34, v35
	v_dual_sub_f32 v31, v31, v32 :: v_dual_sub_f32 v32, v33, v53
	v_sub_f32_e32 v25, v55, v40
	v_add_f32_e32 v33, v35, v34
	v_add_f32_e32 v35, v40, v55
	v_dual_sub_f32 v40, v45, v43 :: v_dual_add_f32 v43, v44, v42
	v_dual_add_f32 v45, v38, v48 :: v_dual_sub_f32 v42, v44, v42
	v_add_f32_e32 v44, v46, v47
	v_sub_f32_e32 v46, v47, v46
	v_sub_f32_e32 v34, v54, v51
	;; [unrolled: 1-line block ×3, first 2 shown]
	v_dual_add_f32 v48, v39, v49 :: v_dual_sub_f32 v39, v49, v39
	s_delay_alu instid0(VALU_DEP_4) | instskip(SKIP_4) | instid1(VALU_DEP_3)
	v_add_f32_e32 v52, v46, v42
	v_sub_f32_e32 v54, v46, v42
	v_dual_sub_f32 v42, v42, v40 :: v_dual_add_f32 v37, v41, v50
	v_dual_add_f32 v47, v43, v36 :: v_dual_sub_f32 v46, v40, v46
	v_dual_sub_f32 v41, v41, v50 :: v_dual_sub_f32 v50, v43, v36
	v_dual_sub_f32 v36, v36, v44 :: v_dual_add_f32 v49, v45, v37
	v_sub_f32_e32 v43, v44, v43
	s_delay_alu instid0(VALU_DEP_4) | instskip(SKIP_1) | instid1(VALU_DEP_4)
	v_dual_add_f32 v44, v44, v47 :: v_dual_sub_f32 v51, v45, v37
	v_add_f32_e32 v40, v52, v40
	v_dual_sub_f32 v45, v48, v45 :: v_dual_mul_f32 v36, 0x3f4a47b2, v36
	s_delay_alu instid0(VALU_DEP_3) | instskip(SKIP_2) | instid1(VALU_DEP_3)
	v_dual_add_f32 v22, v22, v44 :: v_dual_add_f32 v53, v39, v38
	v_sub_f32_e32 v37, v37, v48
	v_sub_f32_e32 v55, v39, v38
	v_dual_sub_f32 v39, v41, v39 :: v_dual_fmamk_f32 v44, v44, 0xbf955555, v22
	v_dual_add_f32 v47, v48, v49 :: v_dual_mul_f32 v52, 0x3f08b237, v54
	v_sub_f32_e32 v38, v38, v41
	v_dual_mul_f32 v48, 0x3d64c772, v43 :: v_dual_add_f32 v41, v53, v41
	v_mul_f32_e32 v54, 0xbf5ff5aa, v42
	v_fmamk_f32 v43, v43, 0x3d64c772, v36
	v_add_f32_e32 v23, v23, v47
	v_mul_f32_e32 v37, 0x3f4a47b2, v37
	v_fma_f32 v48, 0x3f3bfb3b, v50, -v48
	v_fma_f32 v36, 0xbf3bfb3b, v50, -v36
	v_mul_f32_e32 v49, 0x3d64c772, v45
	v_fmamk_f32 v50, v46, 0xbeae86e6, v52
	v_fma_f32 v46, 0x3eae86e6, v46, -v54
	v_dual_add_f32 v54, v43, v44 :: v_dual_mul_f32 v53, 0x3f08b237, v55
	v_add_f32_e32 v43, v48, v44
	v_fmamk_f32 v45, v45, 0x3d64c772, v37
	v_fma_f32 v37, 0xbf3bfb3b, v51, -v37
	v_add_f32_e32 v44, v36, v44
	v_fma_f32 v49, 0x3f3bfb3b, v51, -v49
	v_fmamk_f32 v51, v39, 0xbeae86e6, v53
	v_fmac_f32_e32 v50, 0xbee1c552, v40
	v_mul_f32_e32 v55, 0xbf5ff5aa, v38
	v_fma_f32 v52, 0xbf5ff5aa, v42, -v52
	s_delay_alu instid0(VALU_DEP_4) | instskip(NEXT) | instid1(VALU_DEP_1)
	v_dual_fmac_f32 v51, 0xbee1c552, v41 :: v_dual_fmac_f32 v46, 0xbee1c552, v40
	v_add_f32_e32 v36, v51, v54
	v_fma_f32 v42, 0xbf5ff5aa, v38, -v53
	v_fma_f32 v53, 0x3eae86e6, v39, -v55
	v_fmac_f32_e32 v52, 0xbee1c552, v40
	s_delay_alu instid0(VALU_DEP_3) | instskip(NEXT) | instid1(VALU_DEP_3)
	v_fmac_f32_e32 v42, 0xbee1c552, v41
	v_fmac_f32_e32 v53, 0xbee1c552, v41
	v_fmamk_f32 v47, v47, 0xbf955555, v23
	s_delay_alu instid0(VALU_DEP_3) | instskip(SKIP_1) | instid1(VALU_DEP_3)
	v_sub_f32_e32 v40, v43, v42
	v_add_f32_e32 v42, v42, v43
	v_add_f32_e32 v55, v45, v47
	;; [unrolled: 1-line block ×5, first 2 shown]
	s_delay_alu instid0(VALU_DEP_4) | instskip(NEXT) | instid1(VALU_DEP_4)
	v_dual_sub_f32 v44, v44, v53 :: v_dual_sub_f32 v37, v55, v50
	v_add_f32_e32 v41, v52, v45
	s_delay_alu instid0(VALU_DEP_4)
	v_sub_f32_e32 v39, v47, v46
	v_sub_f32_e32 v43, v45, v52
	v_add_f32_e32 v45, v46, v47
	v_sub_f32_e32 v46, v54, v51
	v_add_f32_e32 v47, v50, v55
	ds_store_b64 v163, v[24:25] offset:1152
	ds_store_b64 v163, v[26:27] offset:2304
	;; [unrolled: 1-line block ×6, first 2 shown]
	ds_store_2addr_b64 v163, v[20:21], v[22:23] offset1:56
	ds_store_b64 v163, v[36:37] offset:1600
	ds_store_b64 v163, v[38:39] offset:2752
	ds_store_b64 v163, v[40:41] offset:3904
	ds_store_b64 v163, v[42:43] offset:5056
	ds_store_b64 v163, v[44:45] offset:6208
	ds_store_b64 v163, v[46:47] offset:7360
	s_and_saveexec_b32 s0, vcc_lo
	s_cbranch_execz .LBB0_9
; %bb.8:
	v_dual_mul_f32 v20, v13, v7 :: v_dual_mul_f32 v21, v11, v69
	v_dual_mul_f32 v22, v9, v3 :: v_dual_mul_f32 v23, v15, v1
	;; [unrolled: 1-line block ×3, first 2 shown]
	s_delay_alu instid0(VALU_DEP_2) | instskip(NEXT) | instid1(VALU_DEP_2)
	v_dual_fmac_f32 v21, v10, v68 :: v_dual_fmac_f32 v22, v8, v2
	v_dual_fmac_f32 v23, v14, v0 :: v_dual_fmac_f32 v24, v16, v70
	s_delay_alu instid0(VALU_DEP_3) | instskip(NEXT) | instid1(VALU_DEP_3)
	v_dual_fmac_f32 v20, v12, v6 :: v_dual_fmac_f32 v25, v18, v76
	v_dual_sub_f32 v26, v21, v22 :: v_dual_mul_f32 v19, v19, v76
	s_delay_alu instid0(VALU_DEP_3) | instskip(NEXT) | instid1(VALU_DEP_3)
	v_dual_sub_f32 v27, v23, v24 :: v_dual_mul_f32 v6, v13, v6
	v_dual_sub_f32 v28, v20, v25 :: v_dual_mul_f32 v17, v17, v70
	s_delay_alu instid0(VALU_DEP_2) | instskip(NEXT) | instid1(VALU_DEP_4)
	v_dual_mul_f32 v0, v15, v0 :: v_dual_sub_f32 v29, v26, v27
	v_fma_f32 v13, v18, v77, -v19
	s_delay_alu instid0(VALU_DEP_3)
	v_sub_f32_e32 v18, v28, v26
	v_fma_f32 v6, v12, v7, -v6
	v_dual_mul_f32 v2, v9, v2 :: v_dual_mul_f32 v7, v11, v68
	v_mul_f32_e32 v19, 0x3f08b237, v29
	v_fma_f32 v9, v16, v71, -v17
	v_fma_f32 v0, v14, v1, -v0
	v_add_f32_e32 v11, v13, v6
	v_fma_f32 v2, v8, v3, -v2
	v_fmamk_f32 v12, v18, 0xbeae86e6, v19
	v_add_f32_e32 v1, v26, v27
	v_fma_f32 v3, v10, v69, -v7
	v_dual_add_f32 v16, v24, v23 :: v_dual_add_f32 v15, v25, v20
	v_sub_f32_e32 v24, v27, v28
	s_delay_alu instid0(VALU_DEP_3) | instskip(SKIP_1) | instid1(VALU_DEP_2)
	v_dual_add_f32 v8, v1, v28 :: v_dual_add_f32 v1, v2, v3
	v_dual_add_f32 v7, v9, v0 :: v_dual_sub_f32 v2, v3, v2
	v_dual_sub_f32 v9, v0, v9 :: v_dual_fmac_f32 v12, 0xbee1c552, v8
	s_delay_alu instid0(VALU_DEP_3) | instskip(NEXT) | instid1(VALU_DEP_3)
	v_sub_f32_e32 v14, v11, v1
	v_add_f32_e32 v10, v7, v11
	v_sub_f32_e32 v17, v1, v7
	s_delay_alu instid0(VALU_DEP_4) | instskip(NEXT) | instid1(VALU_DEP_4)
	v_sub_f32_e32 v3, v2, v9
	v_dual_sub_f32 v7, v7, v11 :: v_dual_mul_f32 v14, 0x3f4a47b2, v14
	s_delay_alu instid0(VALU_DEP_4) | instskip(SKIP_4) | instid1(VALU_DEP_4)
	v_add_f32_e32 v10, v1, v10
	v_add_f32_e32 v20, v22, v21
	v_mul_f32_e32 v21, 0x3d64c772, v17
	v_mul_f32_e32 v23, 0x3f08b237, v3
	v_fmamk_f32 v17, v17, 0x3d64c772, v14
	v_dual_add_f32 v1, v5, v10 :: v_dual_sub_f32 v22, v15, v20
	v_add_f32_e32 v5, v16, v15
	s_delay_alu instid0(VALU_DEP_2) | instskip(NEXT) | instid1(VALU_DEP_2)
	v_dual_sub_f32 v11, v16, v15 :: v_dual_fmamk_f32 v10, v10, 0xbf955555, v1
	v_dual_mul_f32 v22, 0x3f4a47b2, v22 :: v_dual_add_f32 v5, v20, v5
	v_sub_f32_e32 v20, v20, v16
	s_delay_alu instid0(VALU_DEP_2) | instskip(NEXT) | instid1(VALU_DEP_4)
	v_add_f32_e32 v0, v4, v5
	v_dual_sub_f32 v4, v6, v13 :: v_dual_add_f32 v13, v17, v10
	s_delay_alu instid0(VALU_DEP_3) | instskip(SKIP_1) | instid1(VALU_DEP_4)
	v_fmamk_f32 v6, v20, 0x3d64c772, v22
	v_mul_f32_e32 v20, 0x3d64c772, v20
	v_fmamk_f32 v5, v5, 0xbf955555, v0
	s_delay_alu instid0(VALU_DEP_4) | instskip(SKIP_2) | instid1(VALU_DEP_3)
	v_sub_f32_e32 v17, v4, v2
	v_dual_sub_f32 v15, v9, v4 :: v_dual_add_f32 v2, v2, v9
	v_fma_f32 v9, 0xbf3bfb3b, v11, -v22
	v_dual_add_f32 v25, v6, v5 :: v_dual_fmamk_f32 v26, v17, 0xbeae86e6, v23
	v_dual_mul_f32 v6, 0xbf5ff5aa, v24 :: v_dual_add_f32 v3, v12, v13
	s_delay_alu instid0(VALU_DEP_3) | instskip(SKIP_2) | instid1(VALU_DEP_4)
	v_add_f32_e32 v22, v9, v5
	v_fma_f32 v9, 0xbf5ff5aa, v24, -v19
	v_sub_f32_e32 v13, v13, v12
	v_fma_f32 v16, 0x3eae86e6, v18, -v6
	v_fma_f32 v6, 0xbf3bfb3b, v7, -v14
	s_delay_alu instid0(VALU_DEP_4) | instskip(SKIP_2) | instid1(VALU_DEP_4)
	v_fmac_f32_e32 v9, 0xbee1c552, v8
	v_add_f32_e32 v2, v2, v4
	v_fma_f32 v4, 0x3f3bfb3b, v7, -v21
	v_add_f32_e32 v18, v6, v10
	v_fma_f32 v6, 0x3f3bfb3b, v11, -v20
	s_delay_alu instid0(VALU_DEP_3) | instskip(NEXT) | instid1(VALU_DEP_1)
	v_add_f32_e32 v10, v4, v10
	v_sub_f32_e32 v7, v10, v9
	v_dual_add_f32 v9, v9, v10 :: v_dual_fmac_f32 v16, 0xbee1c552, v8
	v_mul_f32_e32 v14, 0xbf5ff5aa, v15
	v_fma_f32 v15, 0xbf5ff5aa, v15, -v23
	v_add_f32_e32 v8, v6, v5
	v_fmac_f32_e32 v26, 0xbee1c552, v2
	s_delay_alu instid0(VALU_DEP_3)
	v_fmac_f32_e32 v15, 0xbee1c552, v2
	v_add_f32_e32 v5, v16, v18
	v_fma_f32 v14, 0x3eae86e6, v17, -v14
	v_sub_f32_e32 v11, v18, v16
	v_add_f32_e32 v12, v26, v25
	v_add_f32_e32 v6, v15, v8
	v_sub_f32_e32 v8, v8, v15
	v_fmac_f32_e32 v14, 0xbee1c552, v2
	v_add_nc_u32_e32 v15, 0xc00, v163
	v_add_nc_u32_e32 v16, 0x1400, v163
	v_sub_f32_e32 v2, v25, v26
	s_delay_alu instid0(VALU_DEP_4)
	v_sub_f32_e32 v4, v22, v14
	v_add_f32_e32 v10, v14, v22
	v_add_nc_u32_e32 v14, 0x200, v163
	ds_store_2addr_b64 v14, v[0:1], v[12:13] offset0:48 offset1:192
	ds_store_2addr_b64 v15, v[10:11], v[8:9] offset0:16 offset1:160
	;; [unrolled: 1-line block ×3, first 2 shown]
	ds_store_b64 v163, v[2:3] offset:7808
.LBB0_9:
	s_wait_alu 0xfffe
	s_or_b32 exec_lo, exec_lo, s0
	global_wb scope:SCOPE_SE
	s_wait_dscnt 0x0
	s_barrier_signal -1
	s_barrier_wait -1
	global_inv scope:SCOPE_SE
	ds_load_2addr_b64 v[0:3], v163 offset1:56
	v_add_nc_u32_e32 v50, 0x800, v163
	v_add_nc_u32_e32 v36, 0x1000, v163
	v_mad_co_u64_u32 v[16:17], null, s6, v108, 0
	v_mad_co_u64_u32 v[34:35], null, s4, v164, 0
	s_mov_b32 s0, 0x10410410
	s_mov_b32 s1, 0x3f504104
	s_movk_i32 s8, 0xf200
	s_mov_b32 s9, -1
	v_add_nc_u32_e32 v37, 0x400, v163
	s_wait_dscnt 0x0
	v_mul_f32_e32 v19, v134, v0
	ds_load_2addr_b64 v[4:7], v50 offset0:192 offset1:248
	ds_load_2addr_b64 v[8:11], v36 offset0:48 offset1:104
	v_mul_f32_e32 v18, v134, v1
	ds_load_2addr_b64 v[12:15], v163 offset0:112 offset1:168
	v_mul_f32_e32 v20, v132, v2
	v_fmac_f32_e32 v18, v133, v0
	v_fma_f32 v0, v133, v1, -v19
	s_wait_dscnt 0x2
	v_mul_f32_e32 v1, v140, v7
	s_delay_alu instid0(VALU_DEP_3)
	v_cvt_f64_f32_e32 v[18:19], v18
	v_mul_f32_e32 v22, v132, v3
	v_mul_f32_e32 v23, v140, v6
	s_wait_dscnt 0x1
	v_dual_mul_f32 v24, v136, v8 :: v_dual_fmac_f32 v1, v139, v6
	s_wait_dscnt 0x0
	v_dual_mul_f32 v39, v130, v12 :: v_dual_fmac_f32 v22, v131, v2
	v_fma_f32 v2, v131, v3, -v20
	v_mul_f32_e32 v3, v136, v9
	v_cvt_f64_f32_e32 v[20:21], v0
	v_fma_f32 v0, v139, v7, -v23
	v_fma_f32 v6, v135, v9, -v24
	v_cvt_f64_f32_e32 v[24:25], v2
	v_fmac_f32_e32 v3, v135, v8
	v_cvt_f64_f32_e32 v[26:27], v1
	v_cvt_f64_f32_e32 v[28:29], v0
	;; [unrolled: 1-line block ×5, first 2 shown]
	ds_load_2addr_b64 v[0:3], v36 offset0:160 offset1:216
	ds_load_2addr_b64 v[6:9], v37 offset0:96 offset1:152
	v_mul_f32_e32 v41, v126, v10
	v_add_nc_u32_e32 v51, 0x1800, v163
	v_mul_f32_e32 v40, v126, v11
	s_delay_alu instid0(VALU_DEP_1)
	v_fmac_f32_e32 v40, v125, v10
	v_mad_co_u64_u32 v[36:37], null, s7, v108, v[17:18]
	v_mul_f32_e32 v17, v130, v13
	s_wait_alu 0xfffe
	v_mul_f64_e32 v[18:19], s[0:1], v[18:19]
	s_mul_u64 s[6:7], s[4:5], 0xfc0
	s_wait_dscnt 0x0
	v_dual_mul_f32 v44, v142, v7 :: v_dual_mul_f32 v43, v144, v1
	v_fmac_f32_e32 v17, v129, v12
	v_mad_co_u64_u32 v[37:38], null, s5, v164, v[35:36]
	v_mul_f32_e32 v35, v128, v15
	v_mul_f32_e32 v38, v128, v14
	v_fma_f32 v39, v129, v13, -v39
	v_cvt_f64_f32_e32 v[12:13], v17
	v_mul_f64_e32 v[20:21], s[0:1], v[20:21]
	v_fmac_f32_e32 v35, v127, v14
	v_fma_f32 v42, v127, v15, -v38
	v_cvt_f64_f32_e32 v[14:15], v39
	v_mul_f32_e32 v38, v144, v0
	v_fma_f32 v17, v125, v11, -v41
	v_mul_f64_e32 v[22:23], s[0:1], v[22:23]
	v_mul_f64_e32 v[24:25], s[0:1], v[24:25]
	;; [unrolled: 1-line block ×5, first 2 shown]
	v_cvt_f64_f32_e32 v[10:11], v35
	v_fma_f32 v35, v143, v1, -v38
	v_dual_fmac_f32 v44, v141, v6 :: v_dual_fmac_f32 v43, v143, v0
	v_cvt_f64_f32_e32 v[0:1], v40
	v_cvt_f64_f32_e32 v[38:39], v17
	v_mul_f64_e32 v[32:33], s[0:1], v[32:33]
	v_cvt_f32_f64_e32 v18, v[18:19]
	v_mul_f64_e32 v[12:13], s[0:1], v[12:13]
	v_cvt_f32_f64_e32 v19, v[20:21]
	;; [unrolled: 2-line block ×3, first 2 shown]
	v_cvt_f32_f64_e32 v21, v[24:25]
	v_cvt_f32_f64_e32 v22, v[26:27]
	;; [unrolled: 1-line block ×4, first 2 shown]
	v_mul_f64_e32 v[26:27], s[0:1], v[0:1]
	v_mul_f64_e32 v[30:31], s[0:1], v[38:39]
	v_cvt_f32_f64_e32 v25, v[32:33]
	v_mul_f64_e32 v[32:33], s[0:1], v[10:11]
	v_cvt_f32_f64_e32 v48, v[12:13]
	v_cvt_f32_f64_e32 v49, v[14:15]
	v_mul_f32_e32 v14, v122, v9
	s_delay_alu instid0(VALU_DEP_1) | instskip(NEXT) | instid1(VALU_DEP_1)
	v_dual_mul_f32 v45, v142, v6 :: v_dual_fmac_f32 v14, v121, v8
	v_fma_f32 v17, v141, v7, -v45
	v_cvt_f64_f32_e32 v[6:7], v42
	v_cvt_f64_f32_e32 v[44:45], v44
	v_mul_f32_e32 v8, v122, v8
	s_delay_alu instid0(VALU_DEP_4)
	v_cvt_f64_f32_e32 v[46:47], v17
	v_dual_mov_b32 v17, v36 :: v_dual_mul_f32 v36, v138, v3
	v_cvt_f64_f32_e32 v[40:41], v43
	v_cvt_f64_f32_e32 v[42:43], v35
	v_mov_b32_e32 v35, v37
	v_mul_f32_e32 v37, v138, v2
	v_fmac_f32_e32 v36, v137, v2
	v_lshlrev_b64_e32 v[16:17], 3, v[16:17]
	v_fma_f32 v8, v121, v9, -v8
	v_lshlrev_b64_e32 v[34:35], 3, v[34:35]
	v_fma_f32 v2, v137, v3, -v37
	s_delay_alu instid0(VALU_DEP_4) | instskip(SKIP_3) | instid1(VALU_DEP_3)
	v_add_co_u32 v56, vcc_lo, s2, v16
	s_wait_alu 0xfffd
	v_add_co_ci_u32_e32 v57, vcc_lo, s3, v17, vcc_lo
	v_cvt_f64_f32_e32 v[16:17], v36
	v_add_co_u32 v10, vcc_lo, v56, v34
	s_wait_alu 0xfffd
	s_delay_alu instid0(VALU_DEP_3)
	v_add_co_ci_u32_e32 v11, vcc_lo, v57, v35, vcc_lo
	s_mul_u64 s[2:3], s[4:5], s[8:9]
	s_wait_alu 0xfffe
	v_add_co_u32 v34, vcc_lo, v10, s6
	s_wait_alu 0xfffd
	v_add_co_ci_u32_e32 v35, vcc_lo, s7, v11, vcc_lo
	v_cvt_f64_f32_e32 v[28:29], v2
	ds_load_2addr_b64 v[0:3], v51 offset0:16 offset1:72
	v_mul_f64_e32 v[6:7], s[0:1], v[6:7]
	v_mul_f64_e32 v[36:37], s[0:1], v[40:41]
	;; [unrolled: 1-line block ×4, first 2 shown]
	v_add_co_u32 v44, vcc_lo, v34, s2
	v_mul_f64_e32 v[42:43], s[0:1], v[46:47]
	s_wait_alu 0xfffd
	v_add_co_ci_u32_e32 v45, vcc_lo, s3, v35, vcc_lo
	s_delay_alu instid0(VALU_DEP_3) | instskip(SKIP_1) | instid1(VALU_DEP_2)
	v_add_co_u32 v46, vcc_lo, v44, s6
	s_wait_alu 0xfffd
	v_add_co_ci_u32_e32 v47, vcc_lo, s7, v45, vcc_lo
	s_clause 0x3
	global_store_b64 v[10:11], v[18:19], off
	global_store_b64 v[34:35], v[22:23], off
	;; [unrolled: 1-line block ×4, first 2 shown]
	v_cvt_f32_f64_e32 v20, v[26:27]
	ds_load_2addr_b64 v[10:13], v50 offset0:80 offset1:136
	v_cvt_f32_f64_e32 v21, v[30:31]
	v_mul_f64_e32 v[26:27], s[0:1], v[16:17]
	v_cvt_f64_f32_e32 v[30:31], v14
	ds_load_2addr_b64 v[14:17], v51 offset0:128 offset1:184
	v_cvt_f32_f64_e32 v22, v[32:33]
	s_wait_dscnt 0x2
	v_mul_f32_e32 v32, v124, v1
	v_add_co_u32 v18, vcc_lo, v46, s2
	s_wait_alu 0xfffd
	v_add_co_ci_u32_e32 v19, vcc_lo, s3, v47, vcc_lo
	s_delay_alu instid0(VALU_DEP_3)
	v_fmac_f32_e32 v32, v123, v0
	v_mul_f64_e32 v[28:29], s[0:1], v[28:29]
	v_cvt_f32_f64_e32 v23, v[6:7]
	s_wait_dscnt 0x1
	v_mul_f32_e32 v35, v120, v10
	v_mul_f32_e32 v34, v120, v11
	v_cvt_f32_f64_e32 v6, v[36:37]
	v_mul_f32_e32 v37, v118, v2
	v_cvt_f32_f64_e32 v7, v[38:39]
	v_cvt_f32_f64_e32 v24, v[40:41]
	s_wait_dscnt 0x0
	v_dual_mul_f32 v38, v116, v13 :: v_dual_mul_f32 v45, v114, v16
	v_mul_f32_e32 v40, v110, v15
	v_cvt_f32_f64_e32 v25, v[42:43]
	v_dual_mul_f32 v36, v118, v3 :: v_dual_mul_f32 v43, v112, v4
	s_delay_alu instid0(VALU_DEP_4)
	v_fmac_f32_e32 v38, v115, v12
	v_mul_f32_e32 v12, v116, v12
	v_fmac_f32_e32 v40, v109, v14
	v_mul_f32_e32 v14, v110, v14
	v_mul_f32_e32 v42, v112, v5
	v_cvt_f64_f32_e32 v[38:39], v38
	v_fma_f32 v12, v115, v13, -v12
	v_fma_f32 v43, v111, v5, -v43
	v_fma_f32 v14, v109, v15, -v14
	v_fmac_f32_e32 v42, v111, v4
	v_mul_f32_e32 v44, v114, v17
	v_cvt_f64_f32_e32 v[12:13], v12
	v_fma_f32 v46, v113, v17, -v45
	v_cvt_f64_f32_e32 v[4:5], v14
	v_dual_mul_f32 v33, v124, v0 :: v_dual_fmac_f32 v34, v119, v10
	v_fmac_f32_e32 v44, v113, v16
	v_add_co_u32 v16, vcc_lo, v18, s6
	s_wait_alu 0xfffd
	v_add_co_ci_u32_e32 v17, vcc_lo, s7, v19, vcc_lo
	v_fma_f32 v35, v119, v11, -v35
	s_delay_alu instid0(VALU_DEP_3) | instskip(SKIP_1) | instid1(VALU_DEP_3)
	v_add_co_u32 v50, vcc_lo, v16, s2
	s_wait_alu 0xfffd
	v_add_co_ci_u32_e32 v51, vcc_lo, s3, v17, vcc_lo
	v_fma_f32 v37, v117, v3, -v37
	s_delay_alu instid0(VALU_DEP_3) | instskip(SKIP_1) | instid1(VALU_DEP_3)
	;; [unrolled: 5-line block ×3, first 2 shown]
	v_add_co_u32 v54, vcc_lo, v52, s2
	s_wait_alu 0xfffd
	v_add_co_ci_u32_e32 v55, vcc_lo, s3, v53, vcc_lo
	global_store_b64 v[18:19], v[48:49], off
	global_store_b64 v[16:17], v[20:21], off
	global_store_b64 v[50:51], v[22:23], off
	global_store_b64 v[52:53], v[6:7], off
	global_store_b64 v[54:55], v[24:25], off
	v_cvt_f64_f32_e32 v[10:11], v34
	v_cvt_f64_f32_e32 v[34:35], v35
	;; [unrolled: 1-line block ×6, first 2 shown]
	v_mul_f64_e32 v[16:17], s[0:1], v[38:39]
	v_mad_co_u64_u32 v[38:39], null, s4, v162, 0
	v_fmac_f32_e32 v36, v117, v2
	v_cvt_f64_f32_e32 v[14:15], v42
	v_cvt_f64_f32_e32 v[42:43], v43
	v_mul_f64_e32 v[12:13], s[0:1], v[12:13]
	v_cvt_f64_f32_e32 v[44:45], v44
	v_mul_f64_e32 v[4:5], s[0:1], v[4:5]
	;; [unrolled: 2-line block ×3, first 2 shown]
	v_cvt_f32_f64_e32 v6, v[26:27]
	v_add_co_u32 v22, vcc_lo, v54, s6
	v_cvt_f32_f64_e32 v7, v[28:29]
	s_wait_alu 0xfffd
	v_add_co_ci_u32_e32 v23, vcc_lo, s7, v55, vcc_lo
	v_mul_f64_e32 v[10:11], s[0:1], v[10:11]
	v_mul_f64_e32 v[34:35], s[0:1], v[34:35]
	;; [unrolled: 1-line block ×6, first 2 shown]
	v_cvt_f32_f64_e32 v16, v[16:17]
	v_mul_f64_e32 v[14:15], s[0:1], v[14:15]
	v_mul_f64_e32 v[20:21], s[0:1], v[42:43]
	v_cvt_f32_f64_e32 v17, v[12:13]
	v_mul_f64_e32 v[24:25], s[0:1], v[44:45]
	v_cvt_f32_f64_e32 v13, v[4:5]
	v_mov_b32_e32 v5, v39
	v_cvt_f64_f32_e32 v[2:3], v36
	v_cvt_f64_f32_e32 v[36:37], v37
	v_mul_f64_e32 v[26:27], s[0:1], v[46:47]
	v_cvt_f32_f64_e32 v28, v[30:31]
	v_cvt_f32_f64_e32 v10, v[10:11]
	;; [unrolled: 1-line block ×6, first 2 shown]
	v_add_co_u32 v0, vcc_lo, v22, s2
	s_wait_alu 0xfffd
	v_add_co_ci_u32_e32 v1, vcc_lo, s3, v23, vcc_lo
	v_mad_co_u64_u32 v[34:35], null, s4, v161, 0
	s_delay_alu instid0(VALU_DEP_3) | instskip(SKIP_1) | instid1(VALU_DEP_3)
	v_add_co_u32 v30, vcc_lo, v0, s6
	s_wait_alu 0xfffd
	v_add_co_ci_u32_e32 v31, vcc_lo, s7, v1, vcc_lo
	v_cvt_f32_f64_e32 v12, v[18:19]
	v_mul_f64_e32 v[2:3], s[0:1], v[2:3]
	v_mul_f64_e32 v[36:37], s[0:1], v[36:37]
	v_add_co_u32 v32, vcc_lo, v30, s2
	s_wait_alu 0xfffd
	v_add_co_ci_u32_e32 v33, vcc_lo, s3, v31, vcc_lo
	v_cvt_f32_f64_e32 v14, v[14:15]
	v_cvt_f32_f64_e32 v15, v[20:21]
	;; [unrolled: 1-line block ×4, first 2 shown]
	v_mov_b32_e32 v4, v35
	global_store_b64 v[22:23], v[6:7], off
	global_store_b64 v[0:1], v[28:29], off
	global_store_b64 v[30:31], v[8:9], off
	v_mad_co_u64_u32 v[24:25], null, s5, v161, v[4:5]
	v_mad_co_u64_u32 v[4:5], null, s5, v162, v[5:6]
	global_store_b64 v[32:33], v[10:11], off
	v_mov_b32_e32 v35, v24
	v_mov_b32_e32 v39, v4
	v_cvt_f32_f64_e32 v2, v[2:3]
	v_cvt_f32_f64_e32 v3, v[36:37]
	v_add_co_u32 v36, vcc_lo, v32, s6
	s_wait_alu 0xfffd
	v_add_co_ci_u32_e32 v37, vcc_lo, s7, v33, vcc_lo
	s_delay_alu instid0(VALU_DEP_2) | instskip(SKIP_1) | instid1(VALU_DEP_2)
	v_add_co_u32 v20, vcc_lo, v36, s2
	s_wait_alu 0xfffd
	v_add_co_ci_u32_e32 v21, vcc_lo, s3, v37, vcc_lo
	s_delay_alu instid0(VALU_DEP_1) | instskip(NEXT) | instid1(VALU_DEP_1)
	v_mad_co_u64_u32 v[25:26], null, 0x1180, s4, v[20:21]
	v_mov_b32_e32 v0, v26
	global_store_b64 v[36:37], v[2:3], off
	v_lshlrev_b64_e32 v[1:2], 3, v[34:35]
	v_lshlrev_b64_e32 v[3:4], 3, v[38:39]
	s_delay_alu instid0(VALU_DEP_2) | instskip(SKIP_2) | instid1(VALU_DEP_4)
	v_mad_co_u64_u32 v[5:6], null, 0x1180, s5, v[0:1]
	v_add_co_u32 v0, vcc_lo, v56, v1
	s_wait_alu 0xfffd
	v_add_co_ci_u32_e32 v1, vcc_lo, v57, v2, vcc_lo
	s_delay_alu instid0(VALU_DEP_4)
	v_add_co_u32 v2, vcc_lo, v56, v3
	s_wait_alu 0xfffd
	v_add_co_ci_u32_e32 v3, vcc_lo, v57, v4, vcc_lo
	v_mov_b32_e32 v26, v5
	global_store_b64 v[20:21], v[16:17], off
	s_clause 0x1
	global_store_b64 v[0:1], v[12:13], off
	global_store_b64 v[2:3], v[14:15], off
	;; [unrolled: 1-line block ×3, first 2 shown]
.LBB0_10:
	s_nop 0
	s_sendmsg sendmsg(MSG_DEALLOC_VGPRS)
	s_endpgm
	.section	.rodata,"a",@progbits
	.p2align	6, 0x0
	.amdhsa_kernel bluestein_single_back_len1008_dim1_sp_op_CI_CI
		.amdhsa_group_segment_fixed_size 8064
		.amdhsa_private_segment_fixed_size 0
		.amdhsa_kernarg_size 104
		.amdhsa_user_sgpr_count 2
		.amdhsa_user_sgpr_dispatch_ptr 0
		.amdhsa_user_sgpr_queue_ptr 0
		.amdhsa_user_sgpr_kernarg_segment_ptr 1
		.amdhsa_user_sgpr_dispatch_id 0
		.amdhsa_user_sgpr_private_segment_size 0
		.amdhsa_wavefront_size32 1
		.amdhsa_uses_dynamic_stack 0
		.amdhsa_enable_private_segment 0
		.amdhsa_system_sgpr_workgroup_id_x 1
		.amdhsa_system_sgpr_workgroup_id_y 0
		.amdhsa_system_sgpr_workgroup_id_z 0
		.amdhsa_system_sgpr_workgroup_info 0
		.amdhsa_system_vgpr_workitem_id 0
		.amdhsa_next_free_vgpr 243
		.amdhsa_next_free_sgpr 20
		.amdhsa_reserve_vcc 1
		.amdhsa_float_round_mode_32 0
		.amdhsa_float_round_mode_16_64 0
		.amdhsa_float_denorm_mode_32 3
		.amdhsa_float_denorm_mode_16_64 3
		.amdhsa_fp16_overflow 0
		.amdhsa_workgroup_processor_mode 1
		.amdhsa_memory_ordered 1
		.amdhsa_forward_progress 0
		.amdhsa_round_robin_scheduling 0
		.amdhsa_exception_fp_ieee_invalid_op 0
		.amdhsa_exception_fp_denorm_src 0
		.amdhsa_exception_fp_ieee_div_zero 0
		.amdhsa_exception_fp_ieee_overflow 0
		.amdhsa_exception_fp_ieee_underflow 0
		.amdhsa_exception_fp_ieee_inexact 0
		.amdhsa_exception_int_div_zero 0
	.end_amdhsa_kernel
	.text
.Lfunc_end0:
	.size	bluestein_single_back_len1008_dim1_sp_op_CI_CI, .Lfunc_end0-bluestein_single_back_len1008_dim1_sp_op_CI_CI
                                        ; -- End function
	.section	.AMDGPU.csdata,"",@progbits
; Kernel info:
; codeLenInByte = 19284
; NumSgprs: 22
; NumVgprs: 243
; ScratchSize: 0
; MemoryBound: 0
; FloatMode: 240
; IeeeMode: 1
; LDSByteSize: 8064 bytes/workgroup (compile time only)
; SGPRBlocks: 2
; VGPRBlocks: 30
; NumSGPRsForWavesPerEU: 22
; NumVGPRsForWavesPerEU: 243
; Occupancy: 5
; WaveLimiterHint : 1
; COMPUTE_PGM_RSRC2:SCRATCH_EN: 0
; COMPUTE_PGM_RSRC2:USER_SGPR: 2
; COMPUTE_PGM_RSRC2:TRAP_HANDLER: 0
; COMPUTE_PGM_RSRC2:TGID_X_EN: 1
; COMPUTE_PGM_RSRC2:TGID_Y_EN: 0
; COMPUTE_PGM_RSRC2:TGID_Z_EN: 0
; COMPUTE_PGM_RSRC2:TIDIG_COMP_CNT: 0
	.text
	.p2alignl 7, 3214868480
	.fill 96, 4, 3214868480
	.type	__hip_cuid_1b8e70f7b6ee681,@object ; @__hip_cuid_1b8e70f7b6ee681
	.section	.bss,"aw",@nobits
	.globl	__hip_cuid_1b8e70f7b6ee681
__hip_cuid_1b8e70f7b6ee681:
	.byte	0                               ; 0x0
	.size	__hip_cuid_1b8e70f7b6ee681, 1

	.ident	"AMD clang version 19.0.0git (https://github.com/RadeonOpenCompute/llvm-project roc-6.4.0 25133 c7fe45cf4b819c5991fe208aaa96edf142730f1d)"
	.section	".note.GNU-stack","",@progbits
	.addrsig
	.addrsig_sym __hip_cuid_1b8e70f7b6ee681
	.amdgpu_metadata
---
amdhsa.kernels:
  - .args:
      - .actual_access:  read_only
        .address_space:  global
        .offset:         0
        .size:           8
        .value_kind:     global_buffer
      - .actual_access:  read_only
        .address_space:  global
        .offset:         8
        .size:           8
        .value_kind:     global_buffer
      - .actual_access:  read_only
        .address_space:  global
        .offset:         16
        .size:           8
        .value_kind:     global_buffer
      - .actual_access:  read_only
        .address_space:  global
        .offset:         24
        .size:           8
        .value_kind:     global_buffer
      - .actual_access:  read_only
        .address_space:  global
        .offset:         32
        .size:           8
        .value_kind:     global_buffer
      - .offset:         40
        .size:           8
        .value_kind:     by_value
      - .address_space:  global
        .offset:         48
        .size:           8
        .value_kind:     global_buffer
      - .address_space:  global
        .offset:         56
        .size:           8
        .value_kind:     global_buffer
      - .address_space:  global
        .offset:         64
        .size:           8
        .value_kind:     global_buffer
      - .address_space:  global
        .offset:         72
        .size:           8
        .value_kind:     global_buffer
      - .offset:         80
        .size:           4
        .value_kind:     by_value
      - .address_space:  global
        .offset:         88
        .size:           8
        .value_kind:     global_buffer
      - .address_space:  global
        .offset:         96
        .size:           8
        .value_kind:     global_buffer
    .group_segment_fixed_size: 8064
    .kernarg_segment_align: 8
    .kernarg_segment_size: 104
    .language:       OpenCL C
    .language_version:
      - 2
      - 0
    .max_flat_workgroup_size: 56
    .name:           bluestein_single_back_len1008_dim1_sp_op_CI_CI
    .private_segment_fixed_size: 0
    .sgpr_count:     22
    .sgpr_spill_count: 0
    .symbol:         bluestein_single_back_len1008_dim1_sp_op_CI_CI.kd
    .uniform_work_group_size: 1
    .uses_dynamic_stack: false
    .vgpr_count:     243
    .vgpr_spill_count: 0
    .wavefront_size: 32
    .workgroup_processor_mode: 1
amdhsa.target:   amdgcn-amd-amdhsa--gfx1201
amdhsa.version:
  - 1
  - 2
...

	.end_amdgpu_metadata
